;; amdgpu-corpus repo=ROCm/rocFFT kind=compiled arch=gfx1201 opt=O3
	.text
	.amdgcn_target "amdgcn-amd-amdhsa--gfx1201"
	.amdhsa_code_object_version 6
	.protected	bluestein_single_fwd_len1728_dim1_dp_op_CI_CI ; -- Begin function bluestein_single_fwd_len1728_dim1_dp_op_CI_CI
	.globl	bluestein_single_fwd_len1728_dim1_dp_op_CI_CI
	.p2align	8
	.type	bluestein_single_fwd_len1728_dim1_dp_op_CI_CI,@function
bluestein_single_fwd_len1728_dim1_dp_op_CI_CI: ; @bluestein_single_fwd_len1728_dim1_dp_op_CI_CI
; %bb.0:
	s_load_b128 s[12:15], s[0:1], 0x28
	v_mul_u32_u24_e32 v1, 0x25f, v0
	s_mov_b32 s2, exec_lo
	v_mov_b32_e32 v6, 0
	s_delay_alu instid0(VALU_DEP_2) | instskip(NEXT) | instid1(VALU_DEP_1)
	v_lshrrev_b32_e32 v1, 16, v1
	v_add_nc_u32_e32 v5, ttmp9, v1
	s_wait_kmcnt 0x0
	s_delay_alu instid0(VALU_DEP_1)
	v_cmpx_gt_u64_e64 s[12:13], v[5:6]
	s_cbranch_execz .LBB0_31
; %bb.1:
	s_clause 0x1
	s_load_b128 s[4:7], s[0:1], 0x18
	s_load_b64 s[12:13], s[0:1], 0x0
	v_mul_lo_u16 v1, 0x6c, v1
	v_mov_b32_e32 v6, v5
	s_movk_i32 s2, 0xfbec
	s_mov_b32 s3, -1
	s_delay_alu instid0(VALU_DEP_2)
	v_sub_nc_u16 v2, v0, v1
	scratch_store_b64 off, v[6:7], off offset:220 ; 8-byte Folded Spill
	s_wait_kmcnt 0x0
	s_load_b128 s[8:11], s[4:5], 0x0
	s_wait_kmcnt 0x0
	v_mad_co_u64_u32 v[0:1], null, s10, v5, 0
	s_mul_u64 s[4:5], s[8:9], 0x240
	s_mul_u64 s[2:3], s[8:9], s[2:3]
	s_delay_alu instid0(SALU_CYCLE_1) | instskip(NEXT) | instid1(VALU_DEP_1)
	s_lshl_b64 s[2:3], s[2:3], 4
	v_mad_co_u64_u32 v[5:6], null, s11, v5, v[1:2]
	v_and_b32_e32 v220, 0xffff, v2
	s_lshl_b64 s[10:11], s[4:5], 4
	s_mul_i32 s4, s9, 0xffffe2c0
	s_delay_alu instid0(SALU_CYCLE_1) | instskip(NEXT) | instid1(VALU_DEP_2)
	s_sub_co_i32 s4, s4, s8
	v_mov_b32_e32 v1, v5
	v_mad_co_u64_u32 v[3:4], null, s8, v220, 0
	v_or_b32_e32 v9, 0x480, v220
	s_delay_alu instid0(VALU_DEP_3) | instskip(NEXT) | instid1(VALU_DEP_3)
	v_lshlrev_b64_e32 v[0:1], 4, v[0:1]
	v_mad_co_u64_u32 v[6:7], null, s9, v220, v[4:5]
	s_delay_alu instid0(VALU_DEP_3) | instskip(NEXT) | instid1(VALU_DEP_3)
	v_mad_co_u64_u32 v[7:8], null, s8, v9, 0
	v_add_co_u32 v11, vcc_lo, s14, v0
	v_lshlrev_b32_e32 v56, 4, v220
	v_add_co_ci_u32_e32 v12, vcc_lo, s15, v1, vcc_lo
	s_delay_alu instid0(VALU_DEP_4)
	v_dual_mov_b32 v4, v6 :: v_dual_mov_b32 v5, v8
	s_clause 0x7
	global_load_b128 v[141:144], v56, s[12:13]
	global_load_b128 v[129:132], v56, s[12:13] offset:1728
	global_load_b128 v[133:136], v56, s[12:13] offset:18432
	;; [unrolled: 1-line block ×7, first 2 shown]
	scratch_store_b32 off, v9, off offset:8 ; 4-byte Folded Spill
	v_lshlrev_b64_e32 v[3:4], 4, v[3:4]
	v_mad_co_u64_u32 v[0:1], null, s9, v9, v[5:6]
	s_clause 0x4
	global_load_b128 v[157:160], v56, s[12:13] offset:14400
	global_load_b128 v[161:164], v56, s[12:13] offset:21888
	;; [unrolled: 1-line block ×5, first 2 shown]
	v_add_co_u32 v3, vcc_lo, v11, v3
	s_wait_alu 0xfffd
	v_add_co_ci_u32_e32 v4, vcc_lo, v12, v4, vcc_lo
	v_mov_b32_e32 v8, v0
	s_wait_alu 0xfffe
	v_add_co_u32 v9, vcc_lo, v3, s10
	s_wait_alu 0xfffd
	v_add_co_ci_u32_e32 v10, vcc_lo, s11, v4, vcc_lo
	v_lshlrev_b64_e32 v[5:6], 4, v[7:8]
	s_delay_alu instid0(VALU_DEP_2) | instskip(NEXT) | instid1(VALU_DEP_2)
	v_mad_co_u64_u32 v[0:1], null, 0xffffe2c0, s8, v[9:10]
	v_add_co_u32 v15, vcc_lo, v11, v5
	s_wait_alu 0xfffd
	s_delay_alu instid0(VALU_DEP_3)
	v_add_co_ci_u32_e32 v16, vcc_lo, v12, v6, vcc_lo
	s_clause 0x1
	global_load_b128 v[3:6], v[3:4], off
	global_load_b128 v[7:10], v[9:10], off
	v_add_nc_u32_e32 v1, s4, v1
	v_add_co_u32 v19, vcc_lo, v0, s10
	s_wait_alu 0xfffd
	s_delay_alu instid0(VALU_DEP_2) | instskip(NEXT) | instid1(VALU_DEP_2)
	v_add_co_ci_u32_e32 v20, vcc_lo, s11, v1, vcc_lo
	v_add_co_u32 v23, vcc_lo, v19, s10
	global_load_b128 v[11:14], v[0:1], off
	s_wait_alu 0xfffd
	v_add_co_ci_u32_e32 v24, vcc_lo, s11, v20, vcc_lo
	v_add_co_u32 v0, vcc_lo, v23, s2
	s_clause 0x1
	global_load_b128 v[15:18], v[15:16], off
	global_load_b128 v[19:22], v[19:20], off
	s_wait_alu 0xfffd
	v_add_co_ci_u32_e32 v1, vcc_lo, s3, v24, vcc_lo
	v_add_co_u32 v31, vcc_lo, v0, s10
	global_load_b128 v[23:26], v[23:24], off
	s_wait_alu 0xfffd
	v_add_co_ci_u32_e32 v32, vcc_lo, s11, v1, vcc_lo
	v_add_co_u32 v35, vcc_lo, v31, s10
	;; [unrolled: 4-line block ×8, first 2 shown]
	s_wait_alu 0xfffd
	s_delay_alu instid0(VALU_DEP_2)
	v_add_co_ci_u32_e32 v1, vcc_lo, s11, v58, vcc_lo
	global_load_b128 v[51:54], v[51:52], off
	global_load_b128 v[177:180], v56, s[12:13] offset:16128
	global_load_b128 v[57:60], v[57:58], off
	global_load_b128 v[181:184], v56, s[12:13] offset:25344
	global_load_b128 v[61:64], v[0:1], off
	v_cmp_gt_u16_e32 vcc_lo, 36, v2
	s_wait_loadcnt 0x1d
	scratch_store_b128 off, v[141:144], off offset:76 ; 16-byte Folded Spill
	s_wait_loadcnt 0x1c
	scratch_store_b128 off, v[129:132], off offset:28 ; 16-byte Folded Spill
	;; [unrolled: 2-line block ×3, first 2 shown]
	s_wait_loadcnt 0x19
	s_clause 0x1
	scratch_store_b128 off, v[137:140], off offset:60
	scratch_store_b128 off, v[125:128], off offset:12
	s_wait_loadcnt 0x17
	scratch_store_b128 off, v[149:152], off offset:108 ; 16-byte Folded Spill
	s_wait_loadcnt 0x16
	s_clause 0x1
	scratch_store_b128 off, v[153:156], off offset:124
	scratch_store_b128 off, v[145:148], off offset:92
	s_wait_loadcnt 0x14
	s_clause 0x1
	scratch_store_b128 off, v[161:164], off offset:156
	scratch_store_b128 off, v[157:160], off offset:140
	;; [unrolled: 4-line block ×3, first 2 shown]
	s_wait_loadcnt 0x11
	scratch_store_b128 off, v[173:176], off offset:204 ; 16-byte Folded Spill
	s_wait_loadcnt 0x10
	v_mul_f64_e32 v[65:66], v[5:6], v[143:144]
	v_mul_f64_e32 v[67:68], v[3:4], v[143:144]
	s_wait_loadcnt 0xf
	v_mul_f64_e32 v[73:74], v[9:10], v[171:172]
	v_mul_f64_e32 v[75:76], v[7:8], v[171:172]
	;; [unrolled: 3-line block ×9, first 2 shown]
	v_fma_f64 v[3:4], v[3:4], v[141:142], v[65:66]
	v_fma_f64 v[5:6], v[5:6], v[141:142], -v[67:68]
	v_fma_f64 v[7:8], v[7:8], v[169:170], v[73:74]
	s_wait_loadcnt 0x7
	v_mul_f64_e32 v[101:102], v[41:42], v[155:156]
	v_mul_f64_e32 v[103:104], v[39:40], v[155:156]
	v_fma_f64 v[9:10], v[9:10], v[169:170], -v[75:76]
	v_add_co_u32 v65, s14, s12, v56
	s_wait_loadcnt 0x6
	v_mul_f64_e32 v[105:106], v[45:46], v[159:160]
	v_mul_f64_e32 v[107:108], v[43:44], v[159:160]
	s_wait_alu 0xf1ff
	v_add_co_ci_u32_e64 v66, null, s13, 0, s14
	v_fma_f64 v[11:12], v[11:12], v[129:130], v[77:78]
	s_wait_loadcnt 0x5
	v_mul_f64_e32 v[109:110], v[49:50], v[167:168]
	v_mul_f64_e32 v[111:112], v[47:48], v[167:168]
	v_fma_f64 v[13:14], v[13:14], v[129:130], -v[79:80]
	v_fma_f64 v[15:16], v[15:16], v[133:134], v[69:70]
	s_wait_loadcnt 0x4
	v_mul_f64_e32 v[113:114], v[53:54], v[175:176]
	s_wait_loadcnt 0x3
	scratch_store_b128 off, v[177:180], off offset:232 ; 16-byte Folded Spill
	v_mul_f64_e32 v[115:116], v[51:52], v[175:176]
	s_wait_loadcnt 0x2
	v_mul_f64_e32 v[117:118], v[59:60], v[179:180]
	v_mul_f64_e32 v[119:120], v[57:58], v[179:180]
	s_wait_loadcnt 0x0
	v_mul_f64_e32 v[121:122], v[63:64], v[183:184]
	v_mul_f64_e32 v[123:124], v[61:62], v[183:184]
	v_fma_f64 v[17:18], v[17:18], v[133:134], -v[71:72]
	v_fma_f64 v[23:24], v[23:24], v[125:126], v[85:86]
	v_fma_f64 v[25:26], v[25:26], v[125:126], -v[87:88]
	v_fma_f64 v[19:20], v[19:20], v[137:138], v[81:82]
	;; [unrolled: 2-line block ×4, first 2 shown]
	v_fma_f64 v[33:34], v[33:34], v[145:146], -v[95:96]
	scratch_store_b128 off, v[181:184], off offset:248 ; 16-byte Folded Spill
	s_load_b64 s[8:9], s[0:1], 0x38
	s_load_b128 s[4:7], s[6:7], 0x0
	scratch_store_b64 off, v[65:66], off    ; 8-byte Folded Spill
	v_fma_f64 v[35:36], v[35:36], v[161:162], v[97:98]
	v_fma_f64 v[37:38], v[37:38], v[161:162], -v[99:100]
	v_fma_f64 v[39:40], v[39:40], v[153:154], v[101:102]
	v_fma_f64 v[41:42], v[41:42], v[153:154], -v[103:104]
	;; [unrolled: 2-line block ×4, first 2 shown]
	ds_store_b128 v56, v[3:6]
	ds_store_b128 v56, v[11:14] offset:1728
	ds_store_b128 v56, v[15:18] offset:18432
	;; [unrolled: 1-line block ×9, first 2 shown]
	v_fma_f64 v[51:52], v[51:52], v[173:174], v[113:114]
	v_fma_f64 v[53:54], v[53:54], v[173:174], -v[115:116]
	v_fma_f64 v[57:58], v[57:58], v[177:178], v[117:118]
	v_fma_f64 v[59:60], v[59:60], v[177:178], -v[119:120]
	;; [unrolled: 2-line block ×3, first 2 shown]
	ds_store_b128 v56, v[7:10] offset:9216
	ds_store_b128 v56, v[51:54] offset:6912
	;; [unrolled: 1-line block ×5, first 2 shown]
	s_and_saveexec_b32 s14, vcc_lo
	s_cbranch_execz .LBB0_3
; %bb.2:
	scratch_load_b64 v[16:17], off, off     ; 8-byte Folded Reload
	v_add_co_u32 v0, s2, v0, s2
	s_wait_alu 0xf1ff
	v_add_co_ci_u32_e64 v1, s2, s3, v1, s2
	s_delay_alu instid0(VALU_DEP_2) | instskip(SKIP_1) | instid1(VALU_DEP_2)
	v_add_co_u32 v8, s2, v0, s10
	s_wait_alu 0xf1ff
	v_add_co_ci_u32_e64 v9, s2, s11, v1, s2
	global_load_b128 v[0:3], v[0:1], off
	v_add_co_u32 v20, s2, v8, s10
	s_wait_alu 0xf1ff
	v_add_co_ci_u32_e64 v21, s2, s11, v9, s2
	s_wait_loadcnt 0x1
	global_load_b128 v[4:7], v[16:17], off offset:8640
	global_load_b128 v[8:11], v[8:9], off
	s_clause 0x1
	global_load_b128 v[12:15], v[16:17], off offset:17856
	global_load_b128 v[16:19], v[16:17], off offset:27072
	global_load_b128 v[20:23], v[20:21], off
	s_wait_loadcnt 0x4
	v_mul_f64_e32 v[24:25], v[2:3], v[6:7]
	v_mul_f64_e32 v[6:7], v[0:1], v[6:7]
	s_wait_loadcnt 0x2
	v_mul_f64_e32 v[26:27], v[10:11], v[14:15]
	v_mul_f64_e32 v[14:15], v[8:9], v[14:15]
	;; [unrolled: 3-line block ×3, first 2 shown]
	v_fma_f64 v[0:1], v[0:1], v[4:5], v[24:25]
	v_fma_f64 v[2:3], v[2:3], v[4:5], -v[6:7]
	v_fma_f64 v[4:5], v[8:9], v[12:13], v[26:27]
	v_fma_f64 v[6:7], v[10:11], v[12:13], -v[14:15]
	;; [unrolled: 2-line block ×3, first 2 shown]
	ds_store_b128 v56, v[0:3] offset:8640
	ds_store_b128 v56, v[4:7] offset:17856
	;; [unrolled: 1-line block ×3, first 2 shown]
.LBB0_3:
	s_wait_alu 0xfffe
	s_or_b32 exec_lo, exec_lo, s14
	global_wb scope:SCOPE_SE
	s_wait_storecnt_dscnt 0x0
	s_wait_kmcnt 0x0
	s_barrier_signal -1
	s_barrier_wait -1
	global_inv scope:SCOPE_SE
	ds_load_b128 v[24:27], v56
	ds_load_b128 v[20:23], v56 offset:1728
	ds_load_b128 v[0:3], v56 offset:18432
	;; [unrolled: 1-line block ×14, first 2 shown]
                                        ; implicit-def: $vgpr40_vgpr41
                                        ; implicit-def: $vgpr72_vgpr73
                                        ; implicit-def: $vgpr68_vgpr69
	s_and_saveexec_b32 s2, vcc_lo
	s_cbranch_execz .LBB0_5
; %bb.4:
	ds_load_b128 v[40:43], v56 offset:8640
	ds_load_b128 v[72:75], v56 offset:17856
	;; [unrolled: 1-line block ×3, first 2 shown]
.LBB0_5:
	s_wait_alu 0xfffe
	s_or_b32 exec_lo, exec_lo, s2
	s_wait_dscnt 0x4
	v_add_f64_e32 v[53:54], v[76:77], v[0:1]
	v_add_f64_e32 v[57:58], v[78:79], v[2:3]
	;; [unrolled: 1-line block ×6, first 2 shown]
	s_wait_dscnt 0x2
	v_add_f64_e32 v[88:89], v[64:65], v[12:13]
	v_add_f64_e32 v[90:91], v[66:67], v[14:15]
	s_wait_dscnt 0x0
	v_add_f64_e32 v[92:93], v[60:61], v[16:17]
	v_add_f64_e32 v[94:95], v[62:63], v[18:19]
	;; [unrolled: 1-line block ×5, first 2 shown]
	v_add_f64_e64 v[104:105], v[78:79], -v[2:3]
	v_add_f64_e32 v[78:79], v[26:27], v[78:79]
	v_add_f64_e64 v[76:77], v[76:77], -v[0:1]
	v_add_f64_e32 v[108:109], v[36:37], v[44:45]
	v_add_f64_e32 v[110:111], v[38:39], v[46:47]
	v_add_f64_e32 v[116:117], v[32:33], v[60:61]
	v_add_f64_e32 v[118:119], v[34:35], v[62:63]
	v_add_f64_e32 v[102:103], v[20:21], v[48:49]
	v_add_f64_e32 v[106:107], v[22:23], v[50:51]
	v_add_f64_e32 v[112:113], v[28:29], v[64:65]
	v_add_f64_e32 v[114:115], v[30:31], v[66:67]
	v_add_f64_e32 v[120:121], v[40:41], v[72:73]
	v_add_f64_e32 v[122:123], v[42:43], v[74:75]
	v_add_f64_e64 v[50:51], v[50:51], -v[6:7]
	v_add_f64_e64 v[48:49], v[48:49], -v[4:5]
	;; [unrolled: 1-line block ×10, first 2 shown]
	s_load_b64 s[2:3], s[0:1], 0x8
	v_add_co_u32 v52, s0, 0x6c, v220
	v_fma_f64 v[24:25], v[53:54], -0.5, v[24:25]
	v_fma_f64 v[26:27], v[57:58], -0.5, v[26:27]
	;; [unrolled: 1-line block ×12, first 2 shown]
	s_wait_alu 0xf1ff
	v_add_co_ci_u32_e64 v55, null, 0, 0, s0
	s_mov_b32 s0, 0xe8584caa
	s_mov_b32 s1, 0x3febb67a
	;; [unrolled: 1-line block ×3, first 2 shown]
	s_wait_alu 0xfffe
	s_mov_b32 s10, s0
	v_add_f64_e32 v[0:1], v[100:101], v[0:1]
	v_add_f64_e32 v[2:3], v[78:79], v[2:3]
	;; [unrolled: 1-line block ×12, first 2 shown]
	global_wb scope:SCOPE_SE
	s_wait_kmcnt 0x0
	s_barrier_signal -1
	s_barrier_wait -1
	global_inv scope:SCOPE_SE
	v_fma_f64 v[16:17], v[104:105], s[0:1], v[24:25]
	s_wait_alu 0xfffe
	v_fma_f64 v[18:19], v[76:77], s[10:11], v[26:27]
	v_fma_f64 v[20:21], v[104:105], s[10:11], v[24:25]
	;; [unrolled: 1-line block ×23, first 2 shown]
	v_mul_lo_u16 v50, v220, 3
	v_add_co_u32 v24, null, 0xd8, v220
	v_add_nc_u32_e32 v49, 0x144, v220
	v_add_nc_u32_e32 v51, 0x1b0, v220
	s_delay_alu instid0(VALU_DEP_4) | instskip(SKIP_3) | instid1(VALU_DEP_4)
	v_and_b32_e32 v50, 0xffff, v50
	v_add_co_u32 v53, null, 0x21c, v220
	v_mul_u32_u24_e32 v54, 3, v52
	v_mul_u32_u24_e32 v55, 3, v24
	v_lshlrev_b32_e32 v57, 4, v50
	v_mul_u32_u24_e32 v49, 3, v49
	ds_store_b128 v57, v[0:3]
	ds_store_b128 v57, v[16:19] offset:16
	v_mul_u32_u24_e32 v0, 3, v51
	v_lshlrev_b32_e32 v54, 4, v54
	v_lshlrev_b32_e32 v50, 4, v55
	;; [unrolled: 1-line block ×3, first 2 shown]
	v_mul_u32_u24_e32 v2, 3, v53
	v_lshlrev_b32_e32 v0, 4, v0
	scratch_store_b32 off, v57, off offset:316 ; 4-byte Folded Spill
	ds_store_b128 v57, v[20:23] offset:32
	ds_store_b128 v54, v[4:7]
	ds_store_b128 v54, v[25:28] offset:16
	scratch_store_b32 off, v54, off offset:312 ; 4-byte Folded Spill
	ds_store_b128 v54, v[29:32] offset:32
	ds_store_b128 v50, v[8:11]
	ds_store_b128 v50, v[33:36] offset:16
	scratch_store_b32 off, v50, off offset:308 ; 4-byte Folded Spill
	ds_store_b128 v50, v[37:40] offset:32
	ds_store_b128 v1, v[12:15]
	ds_store_b128 v1, v[41:44] offset:16
	s_clause 0x1
	scratch_store_b32 off, v2, off offset:304
	scratch_store_b32 off, v1, off offset:300
	ds_store_b128 v1, v[45:48] offset:32
	ds_store_b128 v0, v[108:111]
	ds_store_b128 v0, v[104:107] offset:16
	scratch_store_b32 off, v0, off offset:264 ; 4-byte Folded Spill
	ds_store_b128 v0, v[112:115] offset:32
	s_and_saveexec_b32 s0, vcc_lo
	s_cbranch_execz .LBB0_7
; %bb.6:
	scratch_load_b32 v0, off, off offset:304 ; 4-byte Folded Reload
	s_wait_loadcnt 0x0
	v_lshlrev_b32_e32 v0, 4, v0
	ds_store_b128 v0, v[100:103]
	ds_store_b128 v0, v[116:119] offset:16
	ds_store_b128 v0, v[124:127] offset:32
.LBB0_7:
	s_wait_alu 0xfffe
	s_or_b32 exec_lo, exec_lo, s0
	global_wb scope:SCOPE_SE
	s_wait_storecnt_dscnt 0x0
	s_barrier_signal -1
	s_barrier_wait -1
	global_inv scope:SCOPE_SE
	ds_load_b128 v[128:131], v56
	ds_load_b128 v[120:123], v56 offset:1728
	ds_load_b128 v[4:7], v56 offset:4608
	;; [unrolled: 1-line block ×11, first 2 shown]
	v_cmp_gt_u16_e64 s0, 0x48, v220
	s_delay_alu instid0(VALU_DEP_1)
	s_and_saveexec_b32 s1, s0
	s_cbranch_execz .LBB0_9
; %bb.8:
	ds_load_b128 v[108:111], v56 offset:3456
	ds_load_b128 v[104:107], v56 offset:8064
	ds_load_b128 v[112:115], v56 offset:12672
	ds_load_b128 v[100:103], v56 offset:17280
	ds_load_b128 v[116:119], v56 offset:21888
	ds_load_b128 v[124:127], v56 offset:26496
.LBB0_9:
	s_wait_alu 0xfffe
	s_or_b32 exec_lo, exec_lo, s1
	v_and_b32_e32 v25, 0xff, v220
	s_mov_b32 s10, 0xe8584caa
	s_mov_b32 s11, 0x3febb67a
	;; [unrolled: 1-line block ×3, first 2 shown]
	s_wait_alu 0xfffe
	s_mov_b32 s14, s10
	v_mul_lo_u16 v26, 0xab, v25
	s_delay_alu instid0(VALU_DEP_1) | instskip(NEXT) | instid1(VALU_DEP_1)
	v_lshrrev_b16 v28, 9, v26
	v_mul_lo_u16 v26, v28, 3
	s_delay_alu instid0(VALU_DEP_1) | instskip(NEXT) | instid1(VALU_DEP_1)
	v_sub_nc_u16 v26, v220, v26
	v_and_b32_e32 v29, 0xff, v26
	s_delay_alu instid0(VALU_DEP_1)
	v_mad_co_u64_u32 v[30:31], null, 0x50, v29, s[2:3]
	s_clause 0x1
	global_load_b128 v[34:37], v[30:31], off offset:32
	global_load_b128 v[84:87], v[30:31], off offset:64
	s_wait_loadcnt_dscnt 0x105
	v_mul_f64_e32 v[26:27], v[22:23], v[36:37]
	scratch_store_b128 off, v[34:37], off offset:336 ; 16-byte Folded Spill
	v_fma_f64 v[32:33], v[20:21], v[34:35], -v[26:27]
	v_mul_f64_e32 v[20:21], v[20:21], v[36:37]
	v_and_b32_e32 v26, 0xff, v52
	v_and_b32_e32 v27, 0xffff, v24
	s_delay_alu instid0(VALU_DEP_3) | instskip(SKIP_2) | instid1(VALU_DEP_1)
	v_fma_f64 v[20:21], v[22:23], v[34:35], v[20:21]
	s_wait_loadcnt_dscnt 0x1
	v_mul_f64_e32 v[22:23], v[16:17], v[86:87]
	v_fma_f64 v[22:23], v[18:19], v[84:85], v[22:23]
	v_mul_f64_e32 v[18:19], v[18:19], v[86:87]
	s_delay_alu instid0(VALU_DEP_1) | instskip(SKIP_1) | instid1(VALU_DEP_1)
	v_fma_f64 v[18:19], v[16:17], v[84:85], -v[18:19]
	v_mul_lo_u16 v16, 0xab, v26
	v_lshrrev_b16 v16, 9, v16
	s_delay_alu instid0(VALU_DEP_1) | instskip(NEXT) | instid1(VALU_DEP_1)
	v_mul_lo_u16 v17, v16, 3
	v_sub_nc_u16 v17, v52, v17
	s_delay_alu instid0(VALU_DEP_1) | instskip(NEXT) | instid1(VALU_DEP_1)
	v_and_b32_e32 v17, 0xff, v17
	v_mad_co_u64_u32 v[34:35], null, 0x50, v17, s[2:3]
	s_clause 0x1
	global_load_b128 v[76:79], v[34:35], off offset:32
	global_load_b128 v[80:83], v[34:35], off offset:64
	s_wait_loadcnt 0x1
	v_mul_f64_e32 v[36:37], v[14:15], v[78:79]
	s_delay_alu instid0(VALU_DEP_1) | instskip(SKIP_1) | instid1(VALU_DEP_1)
	v_fma_f64 v[42:43], v[12:13], v[76:77], -v[36:37]
	v_mul_f64_e32 v[12:13], v[12:13], v[78:79]
	v_fma_f64 v[44:45], v[14:15], v[76:77], v[12:13]
	s_wait_loadcnt_dscnt 0x0
	v_mul_f64_e32 v[12:13], v[8:9], v[82:83]
	s_delay_alu instid0(VALU_DEP_1) | instskip(SKIP_1) | instid1(VALU_DEP_1)
	v_fma_f64 v[46:47], v[10:11], v[80:81], v[12:13]
	v_mul_f64_e32 v[10:11], v[10:11], v[82:83]
	v_fma_f64 v[48:49], v[8:9], v[80:81], -v[10:11]
	global_load_b128 v[10:13], v[30:31], off
	s_wait_loadcnt 0x0
	v_mul_f64_e32 v[8:9], v[6:7], v[12:13]
	s_delay_alu instid0(VALU_DEP_1) | instskip(SKIP_1) | instid1(VALU_DEP_1)
	v_fma_f64 v[36:37], v[4:5], v[10:11], -v[8:9]
	v_mul_f64_e32 v[4:5], v[4:5], v[12:13]
	v_fma_f64 v[38:39], v[6:7], v[10:11], v[4:5]
	global_load_b128 v[6:9], v[34:35], off
	scratch_store_b128 off, v[10:13], off offset:268 ; 16-byte Folded Spill
	s_wait_loadcnt 0x0
	scratch_store_b128 off, v[6:9], off offset:284 ; 16-byte Folded Spill
	v_mul_f64_e32 v[4:5], v[2:3], v[8:9]
	s_delay_alu instid0(VALU_DEP_1) | instskip(SKIP_1) | instid1(VALU_DEP_1)
	v_fma_f64 v[50:51], v[0:1], v[6:7], -v[4:5]
	v_mul_f64_e32 v[0:1], v[0:1], v[8:9]
	v_fma_f64 v[53:54], v[2:3], v[6:7], v[0:1]
	global_load_b128 v[2:5], v[30:31], off offset:16
	s_wait_loadcnt 0x0
	v_mul_f64_e32 v[0:1], v[98:99], v[4:5]
	scratch_store_b128 off, v[2:5], off offset:320 ; 16-byte Folded Spill
	v_fma_f64 v[40:41], v[96:97], v[2:3], -v[0:1]
	v_mul_f64_e32 v[0:1], v[96:97], v[4:5]
	s_delay_alu instid0(VALU_DEP_1) | instskip(SKIP_3) | instid1(VALU_DEP_1)
	v_fma_f64 v[57:58], v[98:99], v[2:3], v[0:1]
	global_load_b128 v[96:99], v[30:31], off offset:48
	s_wait_loadcnt 0x0
	v_mul_f64_e32 v[0:1], v[90:91], v[98:99]
	v_fma_f64 v[30:31], v[88:89], v[96:97], -v[0:1]
	v_mul_f64_e32 v[0:1], v[88:89], v[98:99]
	s_delay_alu instid0(VALU_DEP_1) | instskip(SKIP_3) | instid1(VALU_DEP_1)
	v_fma_f64 v[140:141], v[90:91], v[96:97], v[0:1]
	global_load_b128 v[88:91], v[34:35], off offset:16
	s_wait_loadcnt 0x0
	v_mul_f64_e32 v[0:1], v[94:95], v[90:91]
	;; [unrolled: 7-line block ×3, first 2 shown]
	v_fma_f64 v[146:147], v[132:133], v[92:93], -v[0:1]
	v_mul_f64_e32 v[0:1], v[132:133], v[94:95]
	s_delay_alu instid0(VALU_DEP_1) | instskip(SKIP_1) | instid1(VALU_DEP_1)
	v_fma_f64 v[148:149], v[134:135], v[92:93], v[0:1]
	v_mul_u32_u24_e32 v0, 0xaaab, v27
	v_lshrrev_b32_e32 v55, 17, v0
	s_delay_alu instid0(VALU_DEP_1) | instskip(NEXT) | instid1(VALU_DEP_1)
	v_mul_lo_u16 v0, v55, 3
	v_sub_nc_u16 v59, v24, v0
	s_delay_alu instid0(VALU_DEP_1) | instskip(NEXT) | instid1(VALU_DEP_1)
	v_mul_lo_u16 v0, 0x50, v59
	v_and_b32_e32 v0, 0xffff, v0
	s_delay_alu instid0(VALU_DEP_1)
	v_add_co_u32 v0, s1, s2, v0
	s_wait_alu 0xf1ff
	v_add_co_ci_u32_e64 v1, null, s3, 0, s1
	s_clause 0x1
	global_load_b128 v[132:135], v[0:1], off offset:32
	global_load_b128 v[136:139], v[0:1], off offset:64
	s_wait_loadcnt 0x1
	v_mul_f64_e32 v[2:3], v[102:103], v[134:135]
	s_delay_alu instid0(VALU_DEP_1) | instskip(SKIP_1) | instid1(VALU_DEP_1)
	v_fma_f64 v[150:151], v[100:101], v[132:133], -v[2:3]
	v_mul_f64_e32 v[2:3], v[100:101], v[134:135]
	v_fma_f64 v[152:153], v[102:103], v[132:133], v[2:3]
	global_load_b128 v[100:103], v[0:1], off
	s_wait_loadcnt 0x1
	v_mul_f64_e32 v[2:3], v[124:125], v[138:139]
	s_delay_alu instid0(VALU_DEP_1) | instskip(SKIP_1) | instid1(VALU_DEP_1)
	v_fma_f64 v[154:155], v[126:127], v[136:137], v[2:3]
	v_mul_f64_e32 v[2:3], v[126:127], v[138:139]
	v_fma_f64 v[124:125], v[124:125], v[136:137], -v[2:3]
	s_wait_loadcnt 0x0
	v_mul_f64_e32 v[2:3], v[106:107], v[102:103]
	s_delay_alu instid0(VALU_DEP_1) | instskip(SKIP_1) | instid1(VALU_DEP_1)
	v_fma_f64 v[126:127], v[104:105], v[100:101], -v[2:3]
	v_mul_f64_e32 v[2:3], v[104:105], v[102:103]
	v_fma_f64 v[156:157], v[106:107], v[100:101], v[2:3]
	global_load_b128 v[104:107], v[0:1], off offset:16
	s_wait_loadcnt 0x0
	v_mul_f64_e32 v[2:3], v[114:115], v[106:107]
	s_delay_alu instid0(VALU_DEP_1) | instskip(SKIP_1) | instid1(VALU_DEP_1)
	v_fma_f64 v[158:159], v[112:113], v[104:105], -v[2:3]
	v_mul_f64_e32 v[2:3], v[112:113], v[106:107]
	v_fma_f64 v[160:161], v[114:115], v[104:105], v[2:3]
	global_load_b128 v[112:115], v[0:1], off offset:48
	v_add_f64_e32 v[2:3], v[130:131], v[57:58]
	global_wb scope:SCOPE_SE
	s_wait_loadcnt 0x0
	s_wait_storecnt 0x0
	s_barrier_signal -1
	s_barrier_wait -1
	global_inv scope:SCOPE_SE
	v_add_f64_e32 v[6:7], v[2:3], v[140:141]
	v_mul_f64_e32 v[0:1], v[118:119], v[114:115]
	s_delay_alu instid0(VALU_DEP_1) | instskip(SKIP_1) | instid1(VALU_DEP_1)
	v_fma_f64 v[162:163], v[116:117], v[112:113], -v[0:1]
	v_mul_f64_e32 v[0:1], v[116:117], v[114:115]
	v_fma_f64 v[164:165], v[118:119], v[112:113], v[0:1]
	v_add_f64_e32 v[0:1], v[40:41], v[30:31]
	s_delay_alu instid0(VALU_DEP_1) | instskip(SKIP_2) | instid1(VALU_DEP_2)
	v_fma_f64 v[34:35], v[0:1], -0.5, v[128:129]
	v_add_f64_e32 v[0:1], v[57:58], v[140:141]
	v_add_f64_e64 v[57:58], v[57:58], -v[140:141]
	v_fma_f64 v[166:167], v[0:1], -0.5, v[130:131]
	v_add_f64_e32 v[0:1], v[128:129], v[40:41]
	v_add_f64_e64 v[40:41], v[40:41], -v[30:31]
	s_delay_alu instid0(VALU_DEP_2) | instskip(SKIP_1) | instid1(VALU_DEP_1)
	v_add_f64_e32 v[4:5], v[0:1], v[30:31]
	v_add_f64_e32 v[0:1], v[36:37], v[32:33]
	;; [unrolled: 1-line block ×4, first 2 shown]
	s_delay_alu instid0(VALU_DEP_1) | instskip(NEXT) | instid1(VALU_DEP_3)
	v_add_f64_e32 v[10:11], v[0:1], v[22:23]
	v_add_f64_e32 v[0:1], v[4:5], v[8:9]
	v_add_f64_e64 v[4:5], v[4:5], -v[8:9]
	v_add_f64_e32 v[8:9], v[142:143], v[146:147]
	s_delay_alu instid0(VALU_DEP_4) | instskip(SKIP_2) | instid1(VALU_DEP_4)
	v_add_f64_e32 v[2:3], v[6:7], v[10:11]
	v_add_f64_e64 v[6:7], v[6:7], -v[10:11]
	v_add_f64_e32 v[10:11], v[122:123], v[144:145]
	v_fma_f64 v[128:129], v[8:9], -0.5, v[120:121]
	v_add_f64_e32 v[8:9], v[144:145], v[148:149]
	s_delay_alu instid0(VALU_DEP_3) | instskip(NEXT) | instid1(VALU_DEP_2)
	v_add_f64_e32 v[14:15], v[10:11], v[148:149]
	v_fma_f64 v[130:131], v[8:9], -0.5, v[122:123]
	v_add_f64_e32 v[8:9], v[120:121], v[142:143]
	s_wait_alu 0xfffe
	v_fma_f64 v[120:121], v[40:41], s[14:15], v[166:167]
	v_fma_f64 v[40:41], v[40:41], s[10:11], v[166:167]
	s_delay_alu instid0(VALU_DEP_3) | instskip(SKIP_1) | instid1(VALU_DEP_1)
	v_add_f64_e32 v[12:13], v[8:9], v[146:147]
	v_add_f64_e32 v[8:9], v[50:51], v[42:43]
	;; [unrolled: 1-line block ×4, first 2 shown]
	s_delay_alu instid0(VALU_DEP_1) | instskip(NEXT) | instid1(VALU_DEP_3)
	v_add_f64_e32 v[118:119], v[8:9], v[46:47]
	v_add_f64_e32 v[8:9], v[12:13], v[116:117]
	v_add_f64_e64 v[12:13], v[12:13], -v[116:117]
	v_add_f64_e32 v[116:117], v[158:159], v[162:163]
	s_delay_alu instid0(VALU_DEP_4) | instskip(SKIP_2) | instid1(VALU_DEP_4)
	v_add_f64_e32 v[10:11], v[14:15], v[118:119]
	v_add_f64_e64 v[14:15], v[14:15], -v[118:119]
	v_add_f64_e32 v[118:119], v[156:157], v[152:153]
	v_fma_f64 v[176:177], v[116:117], -0.5, v[108:109]
	v_add_f64_e32 v[116:117], v[160:161], v[164:165]
	v_add_f64_e32 v[108:109], v[108:109], v[158:159]
	s_delay_alu instid0(VALU_DEP_4) | instskip(NEXT) | instid1(VALU_DEP_3)
	v_add_f64_e32 v[118:119], v[118:119], v[154:155]
	v_fma_f64 v[178:179], v[116:117], -0.5, v[110:111]
	v_add_f64_e32 v[116:117], v[126:127], v[150:151]
	v_add_f64_e32 v[110:111], v[110:111], v[160:161]
	;; [unrolled: 1-line block ×3, first 2 shown]
	s_delay_alu instid0(VALU_DEP_3) | instskip(NEXT) | instid1(VALU_DEP_3)
	v_add_f64_e32 v[116:117], v[116:117], v[124:125]
	v_add_f64_e32 v[110:111], v[110:111], v[164:165]
	s_delay_alu instid0(VALU_DEP_2) | instskip(SKIP_2) | instid1(VALU_DEP_4)
	v_add_f64_e32 v[168:169], v[108:109], v[116:117]
	v_add_f64_e64 v[116:117], v[108:109], -v[116:117]
	v_add_f64_e32 v[108:109], v[32:33], v[18:19]
	v_add_f64_e32 v[170:171], v[110:111], v[118:119]
	v_add_f64_e64 v[118:119], v[110:111], -v[118:119]
	v_add_f64_e64 v[110:111], v[32:33], -v[18:19]
	v_add_f64_e32 v[18:19], v[20:21], v[22:23]
	v_add_f64_e64 v[22:23], v[20:21], -v[22:23]
	v_fma_f64 v[36:37], v[108:109], -0.5, v[36:37]
	v_fma_f64 v[108:109], v[57:58], s[10:11], v[34:35]
	s_delay_alu instid0(VALU_DEP_4) | instskip(NEXT) | instid1(VALU_DEP_3)
	v_fma_f64 v[38:39], v[18:19], -0.5, v[38:39]
	v_fma_f64 v[20:21], v[22:23], s[10:11], v[36:37]
	v_fma_f64 v[22:23], v[22:23], s[14:15], v[36:37]
	s_delay_alu instid0(VALU_DEP_3)
	v_fma_f64 v[18:19], v[110:111], s[14:15], v[38:39]
	v_fma_f64 v[36:37], v[110:111], s[10:11], v[38:39]
	;; [unrolled: 1-line block ×3, first 2 shown]
	v_add_f64_e64 v[110:111], v[144:145], -v[148:149]
	v_mul_f64_e32 v[34:35], -0.5, v[22:23]
	v_mul_f64_e32 v[30:31], s[10:11], v[18:19]
	s_delay_alu instid0(VALU_DEP_2) | instskip(SKIP_1) | instid1(VALU_DEP_3)
	v_fma_f64 v[57:58], v[36:37], s[10:11], v[34:35]
	v_mul_f64_e32 v[34:35], -0.5, v[36:37]
	v_fma_f64 v[30:31], v[20:21], 0.5, v[30:31]
	v_mul_f64_e32 v[20:21], s[14:15], v[20:21]
	s_delay_alu instid0(VALU_DEP_3)
	v_fma_f64 v[22:23], v[22:23], s[14:15], v[34:35]
	v_add_f64_e32 v[34:35], v[38:39], v[57:58]
	v_add_f64_e64 v[38:39], v[38:39], -v[57:58]
	v_add_f64_e64 v[57:58], v[42:43], -v[48:49]
	v_fma_f64 v[32:33], v[18:19], 0.5, v[20:21]
	v_add_f64_e32 v[18:19], v[108:109], v[30:31]
	v_add_f64_e64 v[30:31], v[108:109], -v[30:31]
	v_add_f64_e64 v[108:109], v[44:45], -v[46:47]
	v_add_f64_e32 v[36:37], v[40:41], v[22:23]
	v_add_f64_e64 v[40:41], v[40:41], -v[22:23]
	v_add_f64_e32 v[22:23], v[42:43], v[48:49]
	v_add_f64_e32 v[42:43], v[44:45], v[46:47]
	v_add_f64_e32 v[20:21], v[120:121], v[32:33]
	v_add_f64_e64 v[32:33], v[120:121], -v[32:33]
	v_add_f64_e64 v[120:121], v[142:143], -v[146:147]
	v_fma_f64 v[22:23], v[22:23], -0.5, v[50:51]
	v_fma_f64 v[53:54], v[42:43], -0.5, v[53:54]
	v_fma_f64 v[50:51], v[110:111], s[10:11], v[128:129]
	s_delay_alu instid0(VALU_DEP_4) | instskip(NEXT) | instid1(VALU_DEP_4)
	v_fma_f64 v[122:123], v[120:121], s[14:15], v[130:131]
	v_fma_f64 v[44:45], v[108:109], s[10:11], v[22:23]
	s_delay_alu instid0(VALU_DEP_4) | instskip(SKIP_1) | instid1(VALU_DEP_2)
	v_fma_f64 v[42:43], v[57:58], s[14:15], v[53:54]
	v_fma_f64 v[22:23], v[108:109], s[14:15], v[22:23]
	v_mul_f64_e32 v[46:47], s[10:11], v[42:43]
	s_delay_alu instid0(VALU_DEP_2) | instskip(NEXT) | instid1(VALU_DEP_2)
	v_mul_f64_e32 v[108:109], -0.5, v[22:23]
	v_fma_f64 v[46:47], v[44:45], 0.5, v[46:47]
	v_mul_f64_e32 v[44:45], s[14:15], v[44:45]
	s_delay_alu instid0(VALU_DEP_1) | instskip(NEXT) | instid1(VALU_DEP_3)
	v_fma_f64 v[48:49], v[42:43], 0.5, v[44:45]
	v_add_f64_e32 v[42:43], v[50:51], v[46:47]
	v_add_f64_e64 v[46:47], v[50:51], -v[46:47]
	v_fma_f64 v[50:51], v[57:58], s[10:11], v[53:54]
	v_fma_f64 v[53:54], v[110:111], s[14:15], v[128:129]
	;; [unrolled: 1-line block ×3, first 2 shown]
	v_add_f64_e64 v[128:129], v[160:161], -v[164:165]
	v_add_f64_e64 v[130:131], v[158:159], -v[162:163]
	v_add_f64_e32 v[44:45], v[122:123], v[48:49]
	v_add_f64_e64 v[48:49], v[122:123], -v[48:49]
	v_fma_f64 v[120:121], v[50:51], s[10:11], v[108:109]
	v_mul_f64_e32 v[50:51], -0.5, v[50:51]
	v_fma_f64 v[144:145], v[128:129], s[10:11], v[176:177]
	v_fma_f64 v[146:147], v[130:131], s[14:15], v[178:179]
	s_delay_alu instid0(VALU_DEP_4) | instskip(NEXT) | instid1(VALU_DEP_4)
	v_add_f64_e32 v[108:109], v[53:54], v[120:121]
	v_fma_f64 v[22:23], v[22:23], s[14:15], v[50:51]
	v_add_f64_e64 v[120:121], v[53:54], -v[120:121]
	v_add_f64_e32 v[53:54], v[152:153], v[154:155]
	v_add_f64_e64 v[50:51], v[150:151], -v[124:125]
	s_delay_alu instid0(VALU_DEP_4) | instskip(SKIP_4) | instid1(VALU_DEP_3)
	v_add_f64_e32 v[110:111], v[57:58], v[22:23]
	v_add_f64_e64 v[122:123], v[57:58], -v[22:23]
	v_add_f64_e32 v[22:23], v[150:151], v[124:125]
	v_fma_f64 v[53:54], v[53:54], -0.5, v[156:157]
	v_add_f64_e64 v[57:58], v[152:153], -v[154:155]
	v_fma_f64 v[22:23], v[22:23], -0.5, v[126:127]
	s_delay_alu instid0(VALU_DEP_3) | instskip(SKIP_2) | instid1(VALU_DEP_4)
	v_fma_f64 v[124:125], v[50:51], s[14:15], v[53:54]
	v_fma_f64 v[50:51], v[50:51], s[10:11], v[53:54]
	;; [unrolled: 1-line block ×4, first 2 shown]
	s_delay_alu instid0(VALU_DEP_4) | instskip(SKIP_2) | instid1(VALU_DEP_3)
	v_mul_f64_e32 v[140:141], s[10:11], v[124:125]
	v_fma_f64 v[22:23], v[57:58], s[14:15], v[22:23]
	v_fma_f64 v[57:58], v[130:131], s[10:11], v[178:179]
	v_fma_f64 v[140:141], v[126:127], 0.5, v[140:141]
	v_mul_f64_e32 v[126:127], s[14:15], v[126:127]
	s_delay_alu instid0(VALU_DEP_4) | instskip(NEXT) | instid1(VALU_DEP_3)
	v_mul_f64_e32 v[128:129], -0.5, v[22:23]
	v_add_f64_e64 v[172:173], v[144:145], -v[140:141]
	s_delay_alu instid0(VALU_DEP_3) | instskip(SKIP_1) | instid1(VALU_DEP_4)
	v_fma_f64 v[142:143], v[124:125], 0.5, v[126:127]
	v_add_f64_e32 v[124:125], v[144:145], v[140:141]
	v_fma_f64 v[140:141], v[50:51], s[10:11], v[128:129]
	v_mul_f64_e32 v[50:51], -0.5, v[50:51]
	s_delay_alu instid0(VALU_DEP_4) | instskip(SKIP_1) | instid1(VALU_DEP_4)
	v_add_f64_e32 v[126:127], v[146:147], v[142:143]
	v_add_f64_e64 v[174:175], v[146:147], -v[142:143]
	v_add_f64_e32 v[128:129], v[53:54], v[140:141]
	s_delay_alu instid0(VALU_DEP_4) | instskip(SKIP_1) | instid1(VALU_DEP_2)
	v_fma_f64 v[22:23], v[22:23], s[14:15], v[50:51]
	v_add_f64_e64 v[180:181], v[53:54], -v[140:141]
	v_add_f64_e32 v[130:131], v[57:58], v[22:23]
	v_add_f64_e64 v[182:183], v[57:58], -v[22:23]
	v_and_b32_e32 v22, 0xffff, v28
	s_delay_alu instid0(VALU_DEP_1) | instskip(NEXT) | instid1(VALU_DEP_1)
	v_mul_u32_u24_e32 v22, 18, v22
	v_add_lshl_u32 v22, v22, v29, 4
	ds_store_b128 v22, v[0:3]
	ds_store_b128 v22, v[4:7] offset:144
	ds_store_b128 v22, v[18:21] offset:48
	;; [unrolled: 1-line block ×4, first 2 shown]
	v_and_b32_e32 v0, 0xffff, v16
	scratch_store_b32 off, v22, off offset:360 ; 4-byte Folded Spill
	ds_store_b128 v22, v[38:41] offset:240
	v_mul_u32_u24_e32 v0, 18, v0
	s_delay_alu instid0(VALU_DEP_1)
	v_add_lshl_u32 v0, v0, v17, 4
	ds_store_b128 v0, v[8:11]
	ds_store_b128 v0, v[42:45] offset:48
	ds_store_b128 v0, v[108:111] offset:96
	;; [unrolled: 1-line block ×4, first 2 shown]
	scratch_store_b32 off, v0, off offset:352 ; 4-byte Folded Spill
	ds_store_b128 v0, v[120:123] offset:240
	v_mad_u16 v0, v55, 18, v59
	scratch_store_b32 off, v0, off offset:356 ; 4-byte Folded Spill
	s_and_saveexec_b32 s1, s0
	s_cbranch_execz .LBB0_11
; %bb.10:
	scratch_load_b32 v0, off, off offset:356 ; 4-byte Folded Reload
	s_wait_loadcnt 0x0
	v_and_b32_e32 v0, 0xffff, v0
	s_delay_alu instid0(VALU_DEP_1)
	v_lshlrev_b32_e32 v0, 4, v0
	ds_store_b128 v0, v[168:171]
	ds_store_b128 v0, v[124:127] offset:48
	ds_store_b128 v0, v[128:131] offset:96
	;; [unrolled: 1-line block ×5, first 2 shown]
.LBB0_11:
	s_wait_alu 0xfffe
	s_or_b32 exec_lo, exec_lo, s1
	global_wb scope:SCOPE_SE
	s_wait_storecnt_dscnt 0x0
	s_barrier_signal -1
	s_barrier_wait -1
	global_inv scope:SCOPE_SE
	ds_load_b128 v[196:199], v56
	ds_load_b128 v[176:179], v56 offset:1728
	ds_load_b128 v[4:7], v56 offset:4608
	;; [unrolled: 1-line block ×11, first 2 shown]
	s_and_saveexec_b32 s1, s0
	s_cbranch_execz .LBB0_13
; %bb.12:
	ds_load_b128 v[168:171], v56 offset:3456
	ds_load_b128 v[124:127], v56 offset:8064
	ds_load_b128 v[128:131], v56 offset:12672
	ds_load_b128 v[116:119], v56 offset:17280
	ds_load_b128 v[172:175], v56 offset:21888
	ds_load_b128 v[180:183], v56 offset:26496
.LBB0_13:
	s_wait_alu 0xfffe
	s_or_b32 exec_lo, exec_lo, s1
	v_mul_lo_u16 v25, v25, 57
	s_mov_b32 s14, 0xe8584caa
	s_mov_b32 s15, 0x3febb67a
	;; [unrolled: 1-line block ×3, first 2 shown]
	s_wait_alu 0xfffe
	s_mov_b32 s10, s14
	v_lshrrev_b16 v25, 10, v25
	s_delay_alu instid0(VALU_DEP_1) | instskip(NEXT) | instid1(VALU_DEP_1)
	v_mul_lo_u16 v28, v25, 18
	v_sub_nc_u16 v28, v220, v28
	s_delay_alu instid0(VALU_DEP_1) | instskip(NEXT) | instid1(VALU_DEP_1)
	v_and_b32_e32 v28, 0xff, v28
	v_mad_co_u64_u32 v[29:30], null, 0x50, v28, s[2:3]
	s_clause 0x4
	global_load_b128 v[148:151], v[29:30], off offset:272
	global_load_b128 v[152:155], v[29:30], off offset:256
	;; [unrolled: 1-line block ×5, first 2 shown]
	s_wait_loadcnt_dscnt 0x405
	v_mul_f64_e32 v[31:32], v[22:23], v[150:151]
	s_delay_alu instid0(VALU_DEP_1) | instskip(SKIP_1) | instid1(VALU_DEP_1)
	v_fma_f64 v[45:46], v[20:21], v[148:149], -v[31:32]
	v_mul_f64_e32 v[20:21], v[20:21], v[150:151]
	v_fma_f64 v[22:23], v[22:23], v[148:149], v[20:21]
	s_wait_loadcnt_dscnt 0x201
	v_mul_f64_e32 v[20:21], v[16:17], v[166:167]
	s_delay_alu instid0(VALU_DEP_1) | instskip(SKIP_1) | instid1(VALU_DEP_1)
	v_fma_f64 v[47:48], v[18:19], v[164:165], v[20:21]
	v_mul_f64_e32 v[18:19], v[18:19], v[166:167]
	v_fma_f64 v[49:50], v[16:17], v[164:165], -v[18:19]
	v_mul_lo_u16 v16, v26, 57
	s_delay_alu instid0(VALU_DEP_1) | instskip(NEXT) | instid1(VALU_DEP_1)
	v_lshrrev_b16 v20, 10, v16
	v_mul_lo_u16 v16, v20, 18
	v_and_b32_e32 v20, 0xffff, v20
	s_delay_alu instid0(VALU_DEP_2) | instskip(NEXT) | instid1(VALU_DEP_2)
	v_sub_nc_u16 v16, v52, v16
	v_mul_u32_u24_e32 v20, 0x6c, v20
	s_delay_alu instid0(VALU_DEP_2) | instskip(NEXT) | instid1(VALU_DEP_1)
	v_and_b32_e32 v21, 0xff, v16
	v_mad_co_u64_u32 v[16:17], null, 0x50, v21, s[2:3]
	s_delay_alu instid0(VALU_DEP_3)
	v_add_lshl_u32 v20, v20, v21, 4
	s_clause 0x2
	global_load_b128 v[156:159], v[16:17], off offset:272
	global_load_b128 v[144:147], v[16:17], off offset:240
	;; [unrolled: 1-line block ×3, first 2 shown]
	s_wait_loadcnt 0x2
	v_mul_f64_e32 v[18:19], v[14:15], v[158:159]
	s_delay_alu instid0(VALU_DEP_1) | instskip(SKIP_1) | instid1(VALU_DEP_1)
	v_fma_f64 v[53:54], v[12:13], v[156:157], -v[18:19]
	v_mul_f64_e32 v[12:13], v[12:13], v[158:159]
	v_fma_f64 v[57:58], v[14:15], v[156:157], v[12:13]
	s_wait_loadcnt_dscnt 0x0
	v_mul_f64_e32 v[12:13], v[8:9], v[162:163]
	s_delay_alu instid0(VALU_DEP_1) | instskip(SKIP_1) | instid1(VALU_DEP_1)
	v_fma_f64 v[200:201], v[10:11], v[160:161], v[12:13]
	v_mul_f64_e32 v[10:11], v[10:11], v[162:163]
	v_fma_f64 v[202:203], v[8:9], v[160:161], -v[10:11]
	v_mul_f64_e32 v[8:9], v[6:7], v[142:143]
	s_delay_alu instid0(VALU_DEP_1) | instskip(SKIP_1) | instid1(VALU_DEP_1)
	v_fma_f64 v[51:52], v[4:5], v[140:141], -v[8:9]
	v_mul_f64_e32 v[4:5], v[4:5], v[142:143]
	v_fma_f64 v[204:205], v[6:7], v[140:141], v[4:5]
	v_mul_f64_e32 v[4:5], v[2:3], v[146:147]
	s_delay_alu instid0(VALU_DEP_1) | instskip(SKIP_1) | instid1(VALU_DEP_1)
	v_fma_f64 v[206:207], v[0:1], v[144:145], -v[4:5]
	v_mul_f64_e32 v[0:1], v[0:1], v[146:147]
	v_fma_f64 v[208:209], v[2:3], v[144:145], v[0:1]
	;; [unrolled: 5-line block ×3, first 2 shown]
	v_mul_f64_e32 v[0:1], v[186:187], v[194:195]
	global_load_b128 v[188:191], v[16:17], off offset:288
	v_fma_f64 v[214:215], v[184:185], v[192:193], -v[0:1]
	v_mul_f64_e32 v[0:1], v[184:185], v[194:195]
	s_delay_alu instid0(VALU_DEP_1) | instskip(SKIP_3) | instid1(VALU_DEP_1)
	v_fma_f64 v[216:217], v[186:187], v[192:193], v[0:1]
	global_load_b128 v[184:187], v[16:17], off offset:256
	s_wait_loadcnt 0x0
	v_mul_f64_e32 v[0:1], v[122:123], v[186:187]
	v_fma_f64 v[218:219], v[120:121], v[184:185], -v[0:1]
	v_mul_f64_e32 v[0:1], v[120:121], v[186:187]
	s_delay_alu instid0(VALU_DEP_1) | instskip(SKIP_1) | instid1(VALU_DEP_1)
	v_fma_f64 v[120:121], v[122:123], v[184:185], v[0:1]
	v_mul_f64_e32 v[0:1], v[110:111], v[190:191]
	v_fma_f64 v[122:123], v[108:109], v[188:189], -v[0:1]
	v_mul_f64_e32 v[0:1], v[108:109], v[190:191]
	s_delay_alu instid0(VALU_DEP_1) | instskip(SKIP_2) | instid1(VALU_DEP_2)
	v_fma_f64 v[108:109], v[110:111], v[188:189], v[0:1]
	v_mul_u32_u24_e32 v0, 0xe38f, v27
	v_add_f64_e32 v[26:27], v[210:211], v[214:215]
	v_lshrrev_b32_e32 v55, 20, v0
	s_delay_alu instid0(VALU_DEP_1) | instskip(NEXT) | instid1(VALU_DEP_1)
	v_mul_lo_u16 v0, v55, 18
	v_sub_nc_u16 v59, v24, v0
	s_delay_alu instid0(VALU_DEP_1) | instskip(NEXT) | instid1(VALU_DEP_1)
	v_mul_lo_u16 v0, 0x50, v59
	v_and_b32_e32 v0, 0xffff, v0
	s_delay_alu instid0(VALU_DEP_1)
	v_add_co_u32 v14, s1, s2, v0
	s_wait_alu 0xf1ff
	v_add_co_ci_u32_e64 v15, null, s3, 0, s1
	s_clause 0x3
	global_load_b128 v[4:7], v[14:15], off offset:272
	global_load_b128 v[8:11], v[14:15], off offset:304
	;; [unrolled: 1-line block ×4, first 2 shown]
	v_fma_f64 v[26:27], v[26:27], -0.5, v[196:197]
	s_wait_loadcnt 0x3
	v_mul_f64_e32 v[2:3], v[116:117], v[6:7]
	v_mul_f64_e32 v[0:1], v[118:119], v[6:7]
	scratch_store_b128 off, v[4:7], off offset:372 ; 16-byte Folded Spill
	s_wait_loadcnt 0x1
	s_clause 0x1
	scratch_store_b128 off, v[16:19], off offset:388
	scratch_store_b128 off, v[8:11], off offset:404
	s_wait_loadcnt 0x0
	scratch_store_b128 off, v[29:32], off offset:420 ; 16-byte Folded Spill
	v_mul_f64_e32 v[12:13], v[130:131], v[31:32]
	v_fma_f64 v[6:7], v[118:119], v[4:5], v[2:3]
	v_mul_f64_e32 v[2:3], v[180:181], v[10:11]
	v_fma_f64 v[0:1], v[116:117], v[4:5], -v[0:1]
	s_delay_alu instid0(VALU_DEP_4) | instskip(NEXT) | instid1(VALU_DEP_3)
	v_fma_f64 v[12:13], v[128:129], v[29:30], -v[12:13]
	v_fma_f64 v[4:5], v[182:183], v[8:9], v[2:3]
	v_mul_f64_e32 v[2:3], v[182:183], v[10:11]
	v_mul_f64_e32 v[10:11], v[124:125], v[18:19]
	s_delay_alu instid0(VALU_DEP_2) | instskip(SKIP_1) | instid1(VALU_DEP_3)
	v_fma_f64 v[2:3], v[180:181], v[8:9], -v[2:3]
	v_mul_f64_e32 v[8:9], v[126:127], v[18:19]
	v_fma_f64 v[10:11], v[126:127], v[16:17], v[10:11]
	s_delay_alu instid0(VALU_DEP_2) | instskip(SKIP_1) | instid1(VALU_DEP_1)
	v_fma_f64 v[8:9], v[124:125], v[16:17], -v[8:9]
	v_mul_f64_e32 v[16:17], v[128:129], v[31:32]
	v_fma_f64 v[18:19], v[130:131], v[29:30], v[16:17]
	global_load_b128 v[29:32], v[14:15], off offset:288
	v_add_f64_e64 v[130:131], v[212:213], -v[216:217]
	s_wait_loadcnt 0x0
	v_mul_f64_e32 v[14:15], v[174:175], v[31:32]
	v_mul_f64_e32 v[16:17], v[172:173], v[31:32]
	scratch_store_b128 off, v[29:32], off offset:436 ; 16-byte Folded Spill
	v_add_f64_e32 v[31:32], v[198:199], v[212:213]
	global_wb scope:SCOPE_SE
	s_wait_storecnt 0x0
	s_barrier_signal -1
	s_barrier_wait -1
	global_inv scope:SCOPE_SE
	v_fma_f64 v[14:15], v[172:173], v[29:30], -v[14:15]
	v_fma_f64 v[16:17], v[174:175], v[29:30], v[16:17]
	v_add_f64_e32 v[29:30], v[212:213], v[216:217]
	v_add_f64_e32 v[35:36], v[31:32], v[216:217]
	v_add_f64_e64 v[172:173], v[210:211], -v[214:215]
	v_fma_f64 v[174:175], v[130:131], s[14:15], v[26:27]
	s_wait_alu 0xfffe
	v_fma_f64 v[26:27], v[130:131], s[10:11], v[26:27]
	v_fma_f64 v[110:111], v[29:30], -0.5, v[198:199]
	v_add_f64_e32 v[29:30], v[196:197], v[210:211]
	s_delay_alu instid0(VALU_DEP_1) | instskip(SKIP_1) | instid1(VALU_DEP_1)
	v_add_f64_e32 v[33:34], v[29:30], v[214:215]
	v_add_f64_e32 v[29:30], v[51:52], v[45:46]
	;; [unrolled: 1-line block ×4, first 2 shown]
	s_delay_alu instid0(VALU_DEP_1) | instskip(NEXT) | instid1(VALU_DEP_3)
	v_add_f64_e32 v[39:40], v[29:30], v[47:48]
	v_add_f64_e32 v[29:30], v[33:34], v[37:38]
	v_add_f64_e64 v[33:34], v[33:34], -v[37:38]
	v_add_f64_e32 v[37:38], v[218:219], v[122:123]
	s_delay_alu instid0(VALU_DEP_4) | instskip(SKIP_2) | instid1(VALU_DEP_4)
	v_add_f64_e32 v[31:32], v[35:36], v[39:40]
	v_add_f64_e64 v[35:36], v[35:36], -v[39:40]
	v_add_f64_e32 v[39:40], v[178:179], v[120:121]
	v_fma_f64 v[116:117], v[37:38], -0.5, v[176:177]
	v_add_f64_e32 v[37:38], v[120:121], v[108:109]
	s_delay_alu instid0(VALU_DEP_3) | instskip(SKIP_1) | instid1(VALU_DEP_3)
	v_add_f64_e32 v[43:44], v[39:40], v[108:109]
	v_add_f64_e64 v[108:109], v[120:121], -v[108:109]
	v_fma_f64 v[118:119], v[37:38], -0.5, v[178:179]
	v_add_f64_e32 v[37:38], v[176:177], v[218:219]
	v_fma_f64 v[176:177], v[172:173], s[10:11], v[110:111]
	v_fma_f64 v[110:111], v[172:173], s[14:15], v[110:111]
	s_delay_alu instid0(VALU_DEP_3) | instskip(SKIP_1) | instid1(VALU_DEP_1)
	v_add_f64_e32 v[41:42], v[37:38], v[122:123]
	v_add_f64_e32 v[37:38], v[206:207], v[53:54]
	;; [unrolled: 1-line block ×4, first 2 shown]
	s_delay_alu instid0(VALU_DEP_1) | instskip(NEXT) | instid1(VALU_DEP_3)
	v_add_f64_e32 v[126:127], v[37:38], v[200:201]
	v_add_f64_e32 v[37:38], v[41:42], v[124:125]
	v_add_f64_e64 v[41:42], v[41:42], -v[124:125]
	v_add_f64_e32 v[124:125], v[45:46], v[49:50]
	s_delay_alu instid0(VALU_DEP_4)
	v_add_f64_e32 v[39:40], v[43:44], v[126:127]
	v_add_f64_e64 v[43:44], v[43:44], -v[126:127]
	v_add_f64_e64 v[126:127], v[45:46], -v[49:50]
	v_add_f64_e32 v[45:46], v[22:23], v[47:48]
	v_add_f64_e64 v[22:23], v[22:23], -v[47:48]
	v_fma_f64 v[124:125], v[124:125], -0.5, v[51:52]
	s_delay_alu instid0(VALU_DEP_3) | instskip(NEXT) | instid1(VALU_DEP_2)
	v_fma_f64 v[128:129], v[45:46], -0.5, v[204:205]
	v_fma_f64 v[47:48], v[22:23], s[14:15], v[124:125]
	v_fma_f64 v[22:23], v[22:23], s[10:11], v[124:125]
	s_delay_alu instid0(VALU_DEP_3) | instskip(SKIP_1) | instid1(VALU_DEP_3)
	v_fma_f64 v[45:46], v[126:127], s[10:11], v[128:129]
	v_fma_f64 v[124:125], v[126:127], s[14:15], v[128:129]
	v_mul_f64_e32 v[126:127], -0.5, v[22:23]
	s_delay_alu instid0(VALU_DEP_3) | instskip(NEXT) | instid1(VALU_DEP_2)
	v_mul_f64_e32 v[49:50], s[14:15], v[45:46]
	v_fma_f64 v[126:127], v[124:125], s[14:15], v[126:127]
	v_mul_f64_e32 v[124:125], -0.5, v[124:125]
	s_delay_alu instid0(VALU_DEP_3) | instskip(SKIP_1) | instid1(VALU_DEP_4)
	v_fma_f64 v[49:50], v[47:48], 0.5, v[49:50]
	v_mul_f64_e32 v[47:48], s[10:11], v[47:48]
	v_add_f64_e32 v[172:173], v[26:27], v[126:127]
	s_delay_alu instid0(VALU_DEP_4) | instskip(NEXT) | instid1(VALU_DEP_3)
	v_fma_f64 v[22:23], v[22:23], s[10:11], v[124:125]
	v_fma_f64 v[51:52], v[45:46], 0.5, v[47:48]
	v_add_f64_e32 v[45:46], v[174:175], v[49:50]
	v_add_f64_e64 v[49:50], v[174:175], -v[49:50]
	s_delay_alu instid0(VALU_DEP_4)
	v_add_f64_e32 v[174:175], v[110:111], v[22:23]
	v_add_f64_e64 v[178:179], v[110:111], -v[22:23]
	v_add_f64_e32 v[22:23], v[53:54], v[202:203]
	v_add_f64_e64 v[110:111], v[218:219], -v[122:123]
	;; [unrolled: 2-line block ×3, first 2 shown]
	v_add_f64_e64 v[176:177], v[26:27], -v[126:127]
	v_add_f64_e64 v[26:27], v[53:54], -v[202:203]
	v_add_f64_e32 v[53:54], v[57:58], v[200:201]
	v_add_f64_e64 v[57:58], v[57:58], -v[200:201]
	v_fma_f64 v[22:23], v[22:23], -0.5, v[206:207]
	v_fma_f64 v[126:127], v[110:111], s[10:11], v[118:119]
	s_delay_alu instid0(VALU_DEP_4) | instskip(NEXT) | instid1(VALU_DEP_3)
	v_fma_f64 v[53:54], v[53:54], -0.5, v[208:209]
	v_fma_f64 v[122:123], v[57:58], s[14:15], v[22:23]
	v_fma_f64 v[22:23], v[57:58], s[10:11], v[22:23]
	;; [unrolled: 1-line block ×3, first 2 shown]
	s_delay_alu instid0(VALU_DEP_4) | instskip(SKIP_2) | instid1(VALU_DEP_3)
	v_fma_f64 v[120:121], v[26:27], s[10:11], v[53:54]
	v_fma_f64 v[26:27], v[26:27], s[14:15], v[53:54]
	v_fma_f64 v[53:54], v[108:109], s[10:11], v[116:117]
	v_mul_f64_e32 v[124:125], s[14:15], v[120:121]
	s_delay_alu instid0(VALU_DEP_1) | instskip(SKIP_1) | instid1(VALU_DEP_1)
	v_fma_f64 v[124:125], v[122:123], 0.5, v[124:125]
	v_mul_f64_e32 v[122:123], s[10:11], v[122:123]
	v_fma_f64 v[120:121], v[120:121], 0.5, v[122:123]
	v_fma_f64 v[122:123], v[108:109], s[14:15], v[116:117]
	v_mul_f64_e32 v[108:109], -0.5, v[22:23]
	s_delay_alu instid0(VALU_DEP_3) | instskip(NEXT) | instid1(VALU_DEP_3)
	v_add_f64_e32 v[182:183], v[126:127], v[120:121]
	v_add_f64_e32 v[180:181], v[122:123], v[124:125]
	s_delay_alu instid0(VALU_DEP_3) | instskip(SKIP_3) | instid1(VALU_DEP_4)
	v_fma_f64 v[108:109], v[26:27], s[14:15], v[108:109]
	v_mul_f64_e32 v[26:27], -0.5, v[26:27]
	v_add_f64_e64 v[196:197], v[122:123], -v[124:125]
	v_add_f64_e64 v[198:199], v[126:127], -v[120:121]
	;; [unrolled: 1-line block ×3, first 2 shown]
	s_delay_alu instid0(VALU_DEP_4) | instskip(SKIP_1) | instid1(VALU_DEP_2)
	v_fma_f64 v[22:23], v[22:23], s[10:11], v[26:27]
	v_add_f64_e32 v[200:201], v[53:54], v[108:109]
	v_add_f64_e64 v[206:207], v[57:58], -v[22:23]
	v_add_f64_e32 v[202:203], v[57:58], v[22:23]
	v_and_b32_e32 v22, 0xffff, v25
	v_add_f64_e64 v[24:25], v[18:19], -v[16:17]
	s_delay_alu instid0(VALU_DEP_2) | instskip(NEXT) | instid1(VALU_DEP_1)
	v_mul_u32_u24_e32 v22, 0x6c, v22
	v_add_lshl_u32 v57, v22, v28, 4
	ds_store_b128 v57, v[29:32]
	ds_store_b128 v57, v[33:36] offset:864
	ds_store_b128 v57, v[45:48] offset:288
	;; [unrolled: 1-line block ×5, first 2 shown]
	ds_store_b128 v20, v[37:40]
	ds_store_b128 v20, v[180:183] offset:288
	ds_store_b128 v20, v[200:203] offset:576
	;; [unrolled: 1-line block ×4, first 2 shown]
	scratch_store_b32 off, v20, off offset:368 ; 4-byte Folded Spill
	ds_store_b128 v20, v[204:207] offset:1440
	v_add_f64_e32 v[20:21], v[0:1], v[2:3]
	v_add_f64_e64 v[22:23], v[6:7], -v[4:5]
	v_add_f64_e64 v[30:31], v[12:13], -v[14:15]
	s_delay_alu instid0(VALU_DEP_3) | instskip(NEXT) | instid1(VALU_DEP_1)
	v_fma_f64 v[20:21], v[20:21], -0.5, v[8:9]
	v_fma_f64 v[34:35], v[22:23], s[10:11], v[20:21]
	v_fma_f64 v[28:29], v[22:23], s[14:15], v[20:21]
	v_add_f64_e32 v[20:21], v[6:7], v[4:5]
	v_add_f64_e64 v[22:23], v[0:1], -v[2:3]
	s_delay_alu instid0(VALU_DEP_2) | instskip(NEXT) | instid1(VALU_DEP_1)
	v_fma_f64 v[20:21], v[20:21], -0.5, v[10:11]
	v_fma_f64 v[32:33], v[22:23], s[10:11], v[20:21]
	v_fma_f64 v[36:37], v[22:23], s[14:15], v[20:21]
	v_add_f64_e32 v[20:21], v[12:13], v[14:15]
	s_delay_alu instid0(VALU_DEP_1) | instskip(NEXT) | instid1(VALU_DEP_1)
	v_fma_f64 v[22:23], v[20:21], -0.5, v[168:169]
	v_fma_f64 v[20:21], v[24:25], s[14:15], v[22:23]
	v_fma_f64 v[24:25], v[24:25], s[10:11], v[22:23]
	v_add_f64_e32 v[22:23], v[18:19], v[16:17]
	s_delay_alu instid0(VALU_DEP_1) | instskip(NEXT) | instid1(VALU_DEP_1)
	v_fma_f64 v[22:23], v[22:23], -0.5, v[170:171]
	v_fma_f64 v[26:27], v[30:31], s[10:11], v[22:23]
	v_fma_f64 v[30:31], v[30:31], s[14:15], v[22:23]
	v_mul_f64_e32 v[22:23], s[14:15], v[32:33]
	s_delay_alu instid0(VALU_DEP_1) | instskip(SKIP_1) | instid1(VALU_DEP_2)
	v_fma_f64 v[22:23], v[28:29], 0.5, v[22:23]
	v_mul_f64_e32 v[28:29], s[10:11], v[28:29]
	v_add_f64_e64 v[240:241], v[20:21], -v[22:23]
	s_delay_alu instid0(VALU_DEP_2) | instskip(SKIP_1) | instid1(VALU_DEP_2)
	v_fma_f64 v[32:33], v[32:33], 0.5, v[28:29]
	v_mul_f64_e32 v[28:29], -0.5, v[34:35]
	v_add_f64_e64 v[242:243], v[26:27], -v[32:33]
	s_delay_alu instid0(VALU_DEP_2) | instskip(SKIP_1) | instid1(VALU_DEP_2)
	v_fma_f64 v[28:29], v[36:37], s[14:15], v[28:29]
	v_mul_f64_e32 v[36:37], -0.5, v[36:37]
	v_add_f64_e64 v[244:245], v[24:25], -v[28:29]
	s_delay_alu instid0(VALU_DEP_2)
	v_fma_f64 v[34:35], v[34:35], s[10:11], v[36:37]
	v_mad_u16 v36, 0x6c, v55, v59
	scratch_store_b32 off, v36, off offset:364 ; 4-byte Folded Spill
	v_add_f64_e64 v[246:247], v[30:31], -v[34:35]
	s_and_saveexec_b32 s1, s0
	s_cbranch_execz .LBB0_15
; %bb.14:
	v_add_f64_e32 v[18:19], v[170:171], v[18:19]
	v_add_f64_e32 v[6:7], v[10:11], v[6:7]
	;; [unrolled: 1-line block ×4, first 2 shown]
	s_delay_alu instid0(VALU_DEP_4) | instskip(NEXT) | instid1(VALU_DEP_4)
	v_add_f64_e32 v[12:13], v[18:19], v[16:17]
	v_add_f64_e32 v[16:17], v[6:7], v[4:5]
	s_delay_alu instid0(VALU_DEP_4) | instskip(NEXT) | instid1(VALU_DEP_4)
	v_add_f64_e32 v[18:19], v[10:11], v[14:15]
	v_add_f64_e32 v[36:37], v[0:1], v[2:3]
	v_add_f64_e32 v[6:7], v[26:27], v[32:33]
	v_add_f64_e32 v[4:5], v[20:21], v[22:23]
	v_add_f64_e32 v[2:3], v[30:31], v[34:35]
	v_add_f64_e32 v[0:1], v[24:25], v[28:29]
	v_add_f64_e32 v[10:11], v[12:13], v[16:17]
	v_add_f64_e64 v[14:15], v[12:13], -v[16:17]
	scratch_load_b32 v16, off, off offset:364 ; 4-byte Folded Reload
	v_add_f64_e32 v[8:9], v[18:19], v[36:37]
	v_add_f64_e64 v[12:13], v[18:19], -v[36:37]
	s_wait_loadcnt 0x0
	v_and_b32_e32 v16, 0xffff, v16
	s_delay_alu instid0(VALU_DEP_1)
	v_lshlrev_b32_e32 v16, 4, v16
	ds_store_b128 v16, v[8:11]
	ds_store_b128 v16, v[4:7] offset:288
	ds_store_b128 v16, v[0:3] offset:576
	;; [unrolled: 1-line block ×5, first 2 shown]
.LBB0_15:
	s_wait_alu 0xfffe
	s_or_b32 exec_lo, exec_lo, s1
	v_mad_co_u64_u32 v[8:9], null, 0xf0, v220, s[2:3]
	global_wb scope:SCOPE_SE
	s_wait_storecnt_dscnt 0x0
	s_barrier_signal -1
	s_barrier_wait -1
	global_inv scope:SCOPE_SE
	v_mov_b32_e32 v74, v220
	s_mov_b32 s2, 0x667f3bcd
	s_clause 0x4
	global_load_b128 v[176:179], v[8:9], off offset:1680
	global_load_b128 v[172:175], v[8:9], off offset:1696
	;; [unrolled: 1-line block ×5, first 2 shown]
	ds_load_b128 v[0:3], v56 offset:1728
	ds_load_b128 v[4:7], v56 offset:3456
	s_clause 0x9
	global_load_b128 v[200:203], v[8:9], off offset:1760
	global_load_b128 v[204:207], v[8:9], off offset:1776
	;; [unrolled: 1-line block ×10, first 2 shown]
	s_mov_b32 s3, 0xbfe6a09e
	s_mov_b32 s11, 0x3fe6a09e
	s_wait_alu 0xfffe
	s_mov_b32 s10, s2
	s_mov_b32 s14, 0xcf328d46
	;; [unrolled: 1-line block ×4, first 2 shown]
	s_wait_alu 0xfffe
	s_mov_b32 s20, s14
	s_mov_b32 s16, 0xa6aea964
	;; [unrolled: 1-line block ×5, first 2 shown]
	s_wait_loadcnt_dscnt 0xe01
	v_mul_f64_e32 v[10:11], v[2:3], v[178:179]
	v_mul_f64_e32 v[12:13], v[0:1], v[178:179]
	s_wait_loadcnt_dscnt 0xd00
	v_mul_f64_e32 v[14:15], v[6:7], v[174:175]
	v_mul_f64_e32 v[16:17], v[4:5], v[174:175]
	s_delay_alu instid0(VALU_DEP_4) | instskip(NEXT) | instid1(VALU_DEP_4)
	v_fma_f64 v[10:11], v[0:1], v[176:177], -v[10:11]
	v_fma_f64 v[12:13], v[2:3], v[176:177], v[12:13]
	ds_load_b128 v[0:3], v56 offset:5184
	v_fma_f64 v[14:15], v[4:5], v[172:173], -v[14:15]
	v_fma_f64 v[16:17], v[6:7], v[172:173], v[16:17]
	s_wait_loadcnt_dscnt 0xc00
	v_mul_f64_e32 v[18:19], v[2:3], v[170:171]
	v_mul_f64_e32 v[4:5], v[0:1], v[170:171]
	s_delay_alu instid0(VALU_DEP_2) | instskip(NEXT) | instid1(VALU_DEP_2)
	v_fma_f64 v[18:19], v[0:1], v[168:169], -v[18:19]
	v_fma_f64 v[20:21], v[2:3], v[168:169], v[4:5]
	ds_load_b128 v[0:3], v56 offset:6912
	s_wait_loadcnt_dscnt 0xb00
	v_mul_f64_e32 v[4:5], v[2:3], v[182:183]
	s_delay_alu instid0(VALU_DEP_1) | instskip(SKIP_1) | instid1(VALU_DEP_1)
	v_fma_f64 v[22:23], v[0:1], v[180:181], -v[4:5]
	v_mul_f64_e32 v[0:1], v[0:1], v[182:183]
	v_fma_f64 v[24:25], v[2:3], v[180:181], v[0:1]
	ds_load_b128 v[0:3], v56 offset:8640
	s_wait_loadcnt_dscnt 0xa00
	v_mul_f64_e32 v[4:5], v[2:3], v[198:199]
	s_delay_alu instid0(VALU_DEP_1) | instskip(SKIP_1) | instid1(VALU_DEP_1)
	v_fma_f64 v[26:27], v[0:1], v[196:197], -v[4:5]
	v_mul_f64_e32 v[0:1], v[0:1], v[198:199]
	;; [unrolled: 7-line block ×5, first 2 shown]
	v_fma_f64 v[40:41], v[2:3], v[208:209], v[0:1]
	ds_load_b128 v[0:3], v56 offset:15552
	s_wait_loadcnt_dscnt 0x600
	v_mul_f64_e32 v[4:5], v[2:3], v[214:215]
	s_delay_alu instid0(VALU_DEP_1) | instskip(SKIP_1) | instid1(VALU_DEP_2)
	v_fma_f64 v[42:43], v[0:1], v[212:213], -v[4:5]
	v_mul_f64_e32 v[0:1], v[0:1], v[214:215]
	v_add_f64_e64 v[42:43], v[10:11], -v[42:43]
	s_delay_alu instid0(VALU_DEP_2) | instskip(SKIP_4) | instid1(VALU_DEP_2)
	v_fma_f64 v[44:45], v[2:3], v[212:213], v[0:1]
	ds_load_b128 v[0:3], v56 offset:17280
	s_wait_loadcnt_dscnt 0x500
	v_mul_f64_e32 v[4:5], v[2:3], v[222:223]
	v_add_f64_e64 v[44:45], v[12:13], -v[44:45]
	v_fma_f64 v[46:47], v[0:1], v[220:221], -v[4:5]
	v_mul_f64_e32 v[0:1], v[0:1], v[222:223]
	s_delay_alu instid0(VALU_DEP_1) | instskip(SKIP_3) | instid1(VALU_DEP_1)
	v_fma_f64 v[48:49], v[2:3], v[220:221], v[0:1]
	ds_load_b128 v[0:3], v56 offset:19008
	s_wait_loadcnt_dscnt 0x400
	v_mul_f64_e32 v[4:5], v[2:3], v[218:219]
	v_fma_f64 v[50:51], v[0:1], v[216:217], -v[4:5]
	v_mul_f64_e32 v[0:1], v[0:1], v[218:219]
	s_delay_alu instid0(VALU_DEP_2) | instskip(NEXT) | instid1(VALU_DEP_2)
	v_add_f64_e64 v[50:51], v[18:19], -v[50:51]
	v_fma_f64 v[52:53], v[2:3], v[216:217], v[0:1]
	ds_load_b128 v[0:3], v56 offset:20736
	s_wait_loadcnt_dscnt 0x300
	v_mul_f64_e32 v[4:5], v[2:3], v[226:227]
	v_add_f64_e64 v[52:53], v[20:21], -v[52:53]
	s_delay_alu instid0(VALU_DEP_2) | instskip(SKIP_1) | instid1(VALU_DEP_3)
	v_fma_f64 v[54:55], v[0:1], v[224:225], -v[4:5]
	v_mul_f64_e32 v[0:1], v[0:1], v[226:227]
	v_fma_f64 v[20:21], v[20:21], 2.0, -v[52:53]
	s_delay_alu instid0(VALU_DEP_3) | instskip(NEXT) | instid1(VALU_DEP_3)
	v_add_f64_e64 v[54:55], v[22:23], -v[54:55]
	v_fma_f64 v[108:109], v[2:3], v[224:225], v[0:1]
	ds_load_b128 v[0:3], v56 offset:22464
	s_wait_loadcnt_dscnt 0x200
	v_mul_f64_e32 v[4:5], v[2:3], v[230:231]
	v_add_f64_e64 v[108:109], v[24:25], -v[108:109]
	s_delay_alu instid0(VALU_DEP_2) | instskip(SKIP_1) | instid1(VALU_DEP_2)
	v_fma_f64 v[110:111], v[0:1], v[228:229], -v[4:5]
	v_mul_f64_e32 v[0:1], v[0:1], v[230:231]
	v_add_f64_e64 v[110:111], v[26:27], -v[110:111]
	s_delay_alu instid0(VALU_DEP_2) | instskip(SKIP_4) | instid1(VALU_DEP_2)
	v_fma_f64 v[116:117], v[2:3], v[228:229], v[0:1]
	ds_load_b128 v[0:3], v56 offset:24192
	s_wait_loadcnt_dscnt 0x100
	v_mul_f64_e32 v[4:5], v[2:3], v[234:235]
	v_add_f64_e64 v[116:117], v[28:29], -v[116:117]
	v_fma_f64 v[118:119], v[0:1], v[232:233], -v[4:5]
	v_mul_f64_e32 v[0:1], v[0:1], v[234:235]
	s_delay_alu instid0(VALU_DEP_1) | instskip(SKIP_3) | instid1(VALU_DEP_1)
	v_fma_f64 v[120:121], v[2:3], v[232:233], v[0:1]
	ds_load_b128 v[0:3], v56 offset:25920
	s_wait_loadcnt_dscnt 0x0
	v_mul_f64_e32 v[4:5], v[2:3], v[238:239]
	v_fma_f64 v[8:9], v[0:1], v[236:237], -v[4:5]
	v_mul_f64_e32 v[0:1], v[0:1], v[238:239]
	ds_load_b128 v[4:7], v56
	v_fma_f64 v[122:123], v[2:3], v[236:237], v[0:1]
	s_wait_dscnt 0x0
	v_add_f64_e64 v[0:1], v[4:5], -v[38:39]
	v_add_f64_e64 v[2:3], v[6:7], -v[40:41]
	s_delay_alu instid0(VALU_DEP_2) | instskip(NEXT) | instid1(VALU_DEP_2)
	v_fma_f64 v[38:39], v[4:5], 2.0, -v[0:1]
	v_fma_f64 v[40:41], v[6:7], 2.0, -v[2:3]
	v_add_f64_e64 v[4:5], v[14:15], -v[46:47]
	v_add_f64_e64 v[6:7], v[16:17], -v[48:49]
	;; [unrolled: 1-line block ×6, first 2 shown]
	v_fma_f64 v[8:9], v[22:23], 2.0, -v[54:55]
	v_fma_f64 v[22:23], v[24:25], 2.0, -v[108:109]
	v_add_f64_e64 v[62:63], v[0:1], -v[108:109]
	v_add_f64_e32 v[54:55], v[2:3], v[54:55]
	v_add_f64_e64 v[108:109], v[42:43], -v[116:117]
	v_fma_f64 v[24:25], v[14:15], 2.0, -v[4:5]
	v_fma_f64 v[122:123], v[16:17], 2.0, -v[6:7]
	;; [unrolled: 1-line block ×11, first 2 shown]
	v_add_f64_e64 v[22:23], v[40:41], -v[22:23]
	v_add_f64_e64 v[34:35], v[38:39], -v[8:9]
	;; [unrolled: 1-line block ×3, first 2 shown]
	v_add_f64_e32 v[46:47], v[6:7], v[46:47]
	v_add_f64_e32 v[110:111], v[44:45], v[110:111]
	v_add_f64_e64 v[116:117], v[50:51], -v[118:119]
	v_add_f64_e32 v[118:119], v[52:53], v[120:121]
	v_add_f64_e64 v[36:37], v[24:25], -v[14:15]
	v_add_f64_e64 v[124:125], v[122:123], -v[16:17]
	;; [unrolled: 1-line block ×6, first 2 shown]
	v_add_f64_e32 v[254:255], v[22:23], v[36:37]
	v_add_f64_e64 v[252:253], v[34:35], -v[124:125]
	v_fma_f64 v[30:31], v[30:31], 2.0, -v[126:127]
	v_fma_f64 v[32:33], v[32:33], 2.0, -v[128:129]
	v_add_f64_e32 v[14:15], v[128:129], v[28:29]
	v_add_f64_e64 v[12:13], v[126:127], -v[130:131]
	v_fma_f64 v[20:21], v[20:21], 2.0, -v[130:131]
	v_fma_f64 v[26:27], v[26:27], 2.0, -v[28:29]
	;; [unrolled: 1-line block ×8, first 2 shown]
	v_fma_f64 v[10:11], v[14:15], s[10:11], v[254:255]
	v_fma_f64 v[8:9], v[12:13], s[10:11], v[252:253]
	v_fma_f64 v[16:17], v[126:127], 2.0, -v[12:13]
	v_add_f64_e64 v[40:41], v[32:33], -v[20:21]
	v_add_f64_e64 v[28:29], v[34:35], -v[22:23]
	;; [unrolled: 1-line block ×3, first 2 shown]
	v_fma_f64 v[10:11], v[12:13], s[10:11], v[10:11]
	v_fma_f64 v[12:13], v[128:129], 2.0, -v[14:15]
	v_fma_f64 v[8:9], v[14:15], s[2:3], v[8:9]
	v_fma_f64 v[14:15], v[16:17], s[2:3], v[58:59]
	v_add_f64_e64 v[20:21], v[28:29], -v[40:41]
	s_delay_alu instid0(VALU_DEP_4)
	v_fma_f64 v[18:19], v[12:13], s[2:3], v[60:61]
	ds_store_b128 v56, v[8:11] offset:24192
	v_fma_f64 v[12:13], v[12:13], s[2:3], v[14:15]
	v_fma_f64 v[24:25], v[28:29], 2.0, -v[20:21]
	v_fma_f64 v[14:15], v[16:17], s[10:11], v[18:19]
	v_fma_f64 v[16:17], v[48:49], s[10:11], v[62:63]
	;; [unrolled: 1-line block ×3, first 2 shown]
	s_delay_alu instid0(VALU_DEP_2) | instskip(SKIP_1) | instid1(VALU_DEP_3)
	v_fma_f64 v[120:121], v[46:47], s[2:3], v[16:17]
	v_fma_f64 v[16:17], v[46:47], s[10:11], v[54:55]
	;; [unrolled: 1-line block ×3, first 2 shown]
	s_delay_alu instid0(VALU_DEP_3) | instskip(NEXT) | instid1(VALU_DEP_3)
	v_fma_f64 v[68:69], v[62:63], 2.0, -v[120:121]
	v_fma_f64 v[64:65], v[48:49], s[10:11], v[16:17]
	v_fma_f64 v[16:17], v[116:117], s[10:11], v[108:109]
	s_delay_alu instid0(VALU_DEP_2) | instskip(NEXT) | instid1(VALU_DEP_2)
	v_fma_f64 v[250:251], v[18:19], s[20:21], v[64:65]
	v_fma_f64 v[16:17], v[118:119], s[2:3], v[16:17]
	v_fma_f64 v[70:71], v[54:55], 2.0, -v[64:65]
	s_delay_alu instid0(VALU_DEP_2) | instskip(NEXT) | instid1(VALU_DEP_4)
	v_fma_f64 v[66:67], v[16:17], s[20:21], v[120:121]
	v_fma_f64 v[250:251], v[16:17], s[18:19], v[250:251]
	s_delay_alu instid0(VALU_DEP_2) | instskip(SKIP_2) | instid1(VALU_DEP_2)
	v_fma_f64 v[248:249], v[18:19], s[16:17], v[66:67]
	v_fma_f64 v[66:67], v[108:109], 2.0, -v[16:17]
	v_fma_f64 v[16:17], v[110:111], 2.0, -v[18:19]
	v_fma_f64 v[18:19], v[66:67], s[16:17], v[68:69]
	s_delay_alu instid0(VALU_DEP_2) | instskip(NEXT) | instid1(VALU_DEP_2)
	v_fma_f64 v[72:73], v[16:17], s[16:17], v[70:71]
	v_fma_f64 v[16:17], v[16:17], s[14:15], v[18:19]
	s_delay_alu instid0(VALU_DEP_2) | instskip(SKIP_1) | instid1(VALU_DEP_1)
	v_fma_f64 v[18:19], v[66:67], s[20:21], v[72:73]
	v_add_f64_e64 v[66:67], v[30:31], -v[26:27]
	v_add_f64_e32 v[22:23], v[36:37], v[66:67]
	s_delay_alu instid0(VALU_DEP_1)
	v_fma_f64 v[26:27], v[36:37], 2.0, -v[22:23]
	ds_store_b128 v56, v[20:23] offset:20736
	v_fma_f64 v[20:21], v[252:253], 2.0, -v[8:9]
	v_fma_f64 v[22:23], v[254:255], 2.0, -v[10:11]
	;; [unrolled: 1-line block ×10, first 2 shown]
	ds_store_b128 v56, v[24:27] offset:6912
	ds_store_b128 v56, v[20:23] offset:10368
	v_fma_f64 v[20:21], v[34:35], 2.0, -v[28:29]
	v_fma_f64 v[22:23], v[38:39], 2.0, -v[36:37]
	v_fma_f64 v[44:45], v[10:11], s[2:3], v[8:9]
	ds_store_b128 v56, v[12:15] offset:17280
	ds_store_b128 v56, v[16:19] offset:19008
	v_fma_f64 v[44:45], v[6:7], s[2:3], v[44:45]
	v_fma_f64 v[6:7], v[6:7], s[2:3], v[4:5]
	s_delay_alu instid0(VALU_DEP_2) | instskip(NEXT) | instid1(VALU_DEP_2)
	v_fma_f64 v[8:9], v[8:9], 2.0, -v[44:45]
	v_fma_f64 v[6:7], v[10:11], s[10:11], v[6:7]
	v_fma_f64 v[10:11], v[2:3], s[2:3], v[50:51]
	s_delay_alu instid0(VALU_DEP_2) | instskip(NEXT) | instid1(VALU_DEP_2)
	v_fma_f64 v[4:5], v[4:5], 2.0, -v[6:7]
	v_fma_f64 v[46:47], v[0:1], s[10:11], v[10:11]
	v_fma_f64 v[0:1], v[0:1], s[2:3], v[42:43]
	s_delay_alu instid0(VALU_DEP_1) | instskip(NEXT) | instid1(VALU_DEP_3)
	v_fma_f64 v[48:49], v[2:3], s[2:3], v[0:1]
	v_fma_f64 v[0:1], v[6:7], s[18:19], v[46:47]
	s_add_nc_u64 s[2:3], s[12:13], 0x6c00
	s_delay_alu instid0(VALU_DEP_2) | instskip(NEXT) | instid1(VALU_DEP_2)
	v_fma_f64 v[10:11], v[44:45], s[18:19], v[48:49]
	v_fma_f64 v[2:3], v[44:45], s[20:21], v[0:1]
	v_fma_f64 v[42:43], v[42:43], 2.0, -v[48:49]
	v_fma_f64 v[44:45], v[50:51], 2.0, -v[46:47]
	s_delay_alu instid0(VALU_DEP_4) | instskip(NEXT) | instid1(VALU_DEP_3)
	v_fma_f64 v[0:1], v[6:7], s[14:15], v[10:11]
	v_fma_f64 v[6:7], v[8:9], s[14:15], v[42:43]
	s_delay_alu instid0(VALU_DEP_3) | instskip(NEXT) | instid1(VALU_DEP_2)
	v_fma_f64 v[10:11], v[4:5], s[14:15], v[44:45]
	v_fma_f64 v[4:5], v[4:5], s[16:17], v[6:7]
	s_delay_alu instid0(VALU_DEP_2)
	v_fma_f64 v[6:7], v[8:9], s[18:19], v[10:11]
	v_fma_f64 v[8:9], v[120:121], 2.0, -v[248:249]
	v_fma_f64 v[10:11], v[64:65], 2.0, -v[250:251]
	ds_store_b128 v56, v[8:11] offset:12096
	v_fma_f64 v[8:9], v[30:31], 2.0, -v[66:67]
	v_fma_f64 v[10:11], v[32:33], 2.0, -v[40:41]
	s_delay_alu instid0(VALU_DEP_2) | instskip(NEXT) | instid1(VALU_DEP_2)
	v_add_f64_e64 v[8:9], v[20:21], -v[8:9]
	v_add_f64_e64 v[10:11], v[22:23], -v[10:11]
	s_delay_alu instid0(VALU_DEP_2) | instskip(NEXT) | instid1(VALU_DEP_2)
	v_fma_f64 v[20:21], v[20:21], 2.0, -v[8:9]
	v_fma_f64 v[22:23], v[22:23], 2.0, -v[10:11]
	ds_store_b128 v56, v[8:11] offset:13824
	v_fma_f64 v[8:9], v[58:59], 2.0, -v[12:13]
	v_fma_f64 v[10:11], v[60:61], 2.0, -v[14:15]
	;; [unrolled: 1-line block ×6, first 2 shown]
	ds_store_b128 v56, v[0:3] offset:22464
	ds_store_b128 v56, v[20:23]
	ds_store_b128 v56, v[8:11] offset:3456
	ds_store_b128 v56, v[12:15] offset:5184
	;; [unrolled: 1-line block ×3, first 2 shown]
	v_fma_f64 v[0:1], v[42:43], 2.0, -v[4:5]
	v_fma_f64 v[2:3], v[44:45], 2.0, -v[6:7]
	ds_store_b128 v56, v[4:7] offset:15552
	ds_store_b128 v56, v[0:3] offset:1728
	;; [unrolled: 1-line block ×3, first 2 shown]
	global_wb scope:SCOPE_SE
	s_wait_dscnt 0x0
	s_barrier_signal -1
	s_barrier_wait -1
	global_inv scope:SCOPE_SE
	scratch_load_b64 v[0:1], off, off       ; 8-byte Folded Reload
	ds_load_b128 v[4:7], v56
	ds_load_b128 v[29:32], v56 offset:3456
	v_lshlrev_b32_e32 v12, 4, v74
	ds_load_b128 v[13:16], v56 offset:18432
	ds_load_b128 v[41:44], v56 offset:21888
	;; [unrolled: 1-line block ×5, first 2 shown]
	scratch_store_b32 off, v74, off offset:228 ; 4-byte Folded Spill
	ds_load_b128 v[120:123], v56 offset:6912
	ds_load_b128 v[47:50], v56 offset:5184
	;; [unrolled: 1-line block ×4, first 2 shown]
	s_wait_loadcnt 0x0
	global_load_b128 v[0:3], v[0:1], off offset:27648
	s_wait_loadcnt_dscnt 0xa
	v_mul_f64_e32 v[8:9], v[6:7], v[2:3]
	v_mul_f64_e32 v[2:3], v[4:5], v[2:3]
	s_delay_alu instid0(VALU_DEP_2) | instskip(NEXT) | instid1(VALU_DEP_2)
	v_fma_f64 v[252:253], v[4:5], v[0:1], -v[8:9]
	v_fma_f64 v[254:255], v[6:7], v[0:1], v[2:3]
	global_load_b128 v[2:5], v12, s[2:3] offset:9216
	ds_load_b128 v[6:9], v56 offset:9216
	s_wait_loadcnt_dscnt 0x0
	v_mul_f64_e32 v[0:1], v[8:9], v[4:5]
	v_mul_f64_e32 v[4:5], v[6:7], v[4:5]
	s_delay_alu instid0(VALU_DEP_2) | instskip(NEXT) | instid1(VALU_DEP_2)
	v_fma_f64 v[0:1], v[6:7], v[2:3], -v[0:1]
	v_fma_f64 v[2:3], v[8:9], v[2:3], v[4:5]
	global_load_b128 v[6:9], v12, s[2:3] offset:18432
	s_wait_loadcnt 0x0
	v_mul_f64_e32 v[4:5], v[15:16], v[8:9]
	v_mul_f64_e32 v[8:9], v[13:14], v[8:9]
	s_delay_alu instid0(VALU_DEP_2) | instskip(NEXT) | instid1(VALU_DEP_2)
	v_fma_f64 v[4:5], v[13:14], v[6:7], -v[4:5]
	v_fma_f64 v[6:7], v[15:16], v[6:7], v[8:9]
	global_load_b128 v[13:16], v12, s[2:3] offset:1728
	ds_load_b128 v[8:11], v56 offset:1728
	s_wait_loadcnt_dscnt 0x0
	v_mul_f64_e32 v[17:18], v[10:11], v[15:16]
	v_mul_f64_e32 v[15:16], v[8:9], v[15:16]
	s_delay_alu instid0(VALU_DEP_2) | instskip(NEXT) | instid1(VALU_DEP_2)
	v_fma_f64 v[8:9], v[8:9], v[13:14], -v[17:18]
	v_fma_f64 v[10:11], v[10:11], v[13:14], v[15:16]
	global_load_b128 v[13:16], v12, s[2:3] offset:10944
	ds_load_b128 v[17:20], v56 offset:10944
	s_wait_loadcnt_dscnt 0x0
	;; [unrolled: 8-line block ×3, first 2 shown]
	v_mul_f64_e32 v[13:14], v[25:26], v[21:22]
	v_mul_f64_e32 v[27:28], v[23:24], v[21:22]
	s_delay_alu instid0(VALU_DEP_2) | instskip(NEXT) | instid1(VALU_DEP_2)
	v_fma_f64 v[21:22], v[23:24], v[19:20], -v[13:14]
	v_fma_f64 v[23:24], v[25:26], v[19:20], v[27:28]
	global_load_b128 v[25:28], v12, s[2:3] offset:3456
	s_wait_loadcnt 0x0
	v_mul_f64_e32 v[13:14], v[31:32], v[27:28]
	v_mul_f64_e32 v[19:20], v[29:30], v[27:28]
	s_delay_alu instid0(VALU_DEP_2) | instskip(NEXT) | instid1(VALU_DEP_2)
	v_fma_f64 v[27:28], v[29:30], v[25:26], -v[13:14]
	v_fma_f64 v[29:30], v[31:32], v[25:26], v[19:20]
	global_load_b128 v[31:34], v12, s[2:3] offset:12672
	s_wait_loadcnt 0x0
	;; [unrolled: 7-line block ×9, first 2 shown]
	v_mul_f64_e32 v[13:14], v[130:131], v[110:111]
	v_mul_f64_e32 v[19:20], v[128:129], v[110:111]
	s_delay_alu instid0(VALU_DEP_2) | instskip(NEXT) | instid1(VALU_DEP_2)
	v_fma_f64 v[128:129], v[128:129], v[108:109], -v[13:14]
	v_fma_f64 v[130:131], v[130:131], v[108:109], v[19:20]
	ds_store_b128 v56, v[252:255]
	ds_store_b128 v56, v[0:3] offset:9216
	ds_store_b128 v56, v[4:7] offset:18432
	;; [unrolled: 1-line block ×14, first 2 shown]
	s_and_saveexec_b32 s1, vcc_lo
	s_cbranch_execz .LBB0_17
; %bb.16:
	s_wait_alu 0xfffe
	v_add_co_u32 v8, s2, s2, v12
	s_wait_alu 0xf1ff
	v_add_co_ci_u32_e64 v9, null, s3, 0, s2
	s_clause 0x2
	global_load_b128 v[0:3], v[8:9], off offset:8640
	global_load_b128 v[4:7], v[8:9], off offset:17856
	;; [unrolled: 1-line block ×3, first 2 shown]
	ds_load_b128 v[12:15], v56 offset:8640
	ds_load_b128 v[16:19], v56 offset:17856
	ds_load_b128 v[20:23], v56 offset:27072
	s_wait_loadcnt_dscnt 0x202
	v_mul_f64_e32 v[24:25], v[14:15], v[2:3]
	v_mul_f64_e32 v[2:3], v[12:13], v[2:3]
	s_wait_loadcnt_dscnt 0x101
	v_mul_f64_e32 v[26:27], v[18:19], v[6:7]
	v_mul_f64_e32 v[6:7], v[16:17], v[6:7]
	;; [unrolled: 3-line block ×3, first 2 shown]
	v_fma_f64 v[12:13], v[12:13], v[0:1], -v[24:25]
	v_fma_f64 v[14:15], v[14:15], v[0:1], v[2:3]
	v_fma_f64 v[0:1], v[16:17], v[4:5], -v[26:27]
	v_fma_f64 v[2:3], v[18:19], v[4:5], v[6:7]
	;; [unrolled: 2-line block ×3, first 2 shown]
	ds_store_b128 v56, v[12:15] offset:8640
	ds_store_b128 v56, v[0:3] offset:17856
	;; [unrolled: 1-line block ×3, first 2 shown]
.LBB0_17:
	s_wait_alu 0xfffe
	s_or_b32 exec_lo, exec_lo, s1
	global_wb scope:SCOPE_SE
	s_wait_storecnt_dscnt 0x0
	s_barrier_signal -1
	s_barrier_wait -1
	global_inv scope:SCOPE_SE
	ds_load_b128 v[20:23], v56
	ds_load_b128 v[16:19], v56 offset:1728
	ds_load_b128 v[48:51], v56 offset:18432
	;; [unrolled: 1-line block ×14, first 2 shown]
	s_and_saveexec_b32 s1, vcc_lo
	s_cbranch_execz .LBB0_19
; %bb.18:
	ds_load_b128 v[248:251], v56 offset:8640
	ds_load_b128 v[240:243], v56 offset:17856
	;; [unrolled: 1-line block ×3, first 2 shown]
.LBB0_19:
	s_wait_alu 0xfffe
	s_or_b32 exec_lo, exec_lo, s1
	s_wait_dscnt 0x4
	v_add_f64_e32 v[60:61], v[22:23], v[54:55]
	v_add_f64_e32 v[64:65], v[54:55], v[50:51]
	v_add_f64_e64 v[54:55], v[54:55], -v[50:51]
	v_add_f64_e32 v[68:69], v[46:47], v[42:43]
	v_add_f64_e32 v[72:73], v[34:35], v[254:255]
	v_add_f64_e64 v[74:75], v[34:35], -v[254:255]
	;; [unrolled: 3-line block ×3, first 2 shown]
	s_wait_dscnt 0x2
	v_add_f64_e32 v[116:117], v[38:39], v[30:31]
	s_wait_dscnt 0x0
	v_add_f64_e32 v[120:121], v[26:27], v[6:7]
	v_add_f64_e64 v[122:123], v[26:27], -v[6:7]
	s_mov_b32 s2, 0xe8584caa
	s_mov_b32 s3, 0xbfebb67a
	;; [unrolled: 1-line block ×3, first 2 shown]
	s_wait_alu 0xfffe
	s_mov_b32 s10, s2
	global_wb scope:SCOPE_SE
	s_barrier_signal -1
	s_barrier_wait -1
	global_inv scope:SCOPE_SE
	v_add_f64_e32 v[66:67], v[44:45], v[40:41]
	v_add_f64_e32 v[70:71], v[32:33], v[252:253]
	v_add_f64_e64 v[108:109], v[32:33], -v[252:253]
	v_add_f64_e32 v[110:111], v[36:37], v[28:29]
	v_add_f64_e32 v[118:119], v[24:25], v[4:5]
	v_add_f64_e64 v[124:125], v[24:25], -v[4:5]
	v_add_f64_e64 v[126:127], v[242:243], -v[246:247]
	;; [unrolled: 1-line block ×3, first 2 shown]
	v_add_f64_e32 v[50:51], v[60:61], v[50:51]
	v_add_f64_e32 v[60:61], v[18:19], v[46:47]
	v_add_f64_e64 v[46:47], v[46:47], -v[42:43]
	v_add_f64_e32 v[48:49], v[58:59], v[48:49]
	v_add_f64_e32 v[58:59], v[16:17], v[44:45]
	v_add_f64_e64 v[44:45], v[44:45], -v[40:41]
	v_add_f64_e32 v[42:43], v[60:61], v[42:43]
	v_add_f64_e32 v[60:61], v[14:15], v[34:35]
	s_delay_alu instid0(VALU_DEP_4) | instskip(SKIP_1) | instid1(VALU_DEP_3)
	v_add_f64_e32 v[40:41], v[58:59], v[40:41]
	v_add_f64_e32 v[58:59], v[12:13], v[32:33]
	;; [unrolled: 1-line block ×4, first 2 shown]
	v_add_f64_e64 v[38:39], v[38:39], -v[30:31]
	v_fma_f64 v[2:3], v[116:117], -0.5, v[2:3]
	v_add_f64_e32 v[32:33], v[58:59], v[252:253]
	v_add_f64_e32 v[58:59], v[0:1], v[36:37]
	v_add_f64_e64 v[36:37], v[36:37], -v[28:29]
	v_fma_f64 v[0:1], v[110:111], -0.5, v[0:1]
	v_add_f64_e32 v[30:31], v[60:61], v[30:31]
	v_add_f64_e32 v[60:61], v[10:11], v[26:27]
	v_fma_f64 v[26:27], v[64:65], -0.5, v[22:23]
	v_fma_f64 v[10:11], v[120:121], -0.5, v[10:11]
	v_add_f64_e32 v[28:29], v[58:59], v[28:29]
	v_add_f64_e32 v[58:59], v[8:9], v[24:25]
	v_fma_f64 v[24:25], v[62:63], -0.5, v[20:21]
	v_fma_f64 v[8:9], v[118:119], -0.5, v[8:9]
	v_add_f64_e32 v[254:255], v[60:61], v[6:7]
	s_wait_alu 0xfffe
	v_fma_f64 v[22:23], v[52:53], s[10:11], v[26:27]
	v_fma_f64 v[26:27], v[52:53], s[2:3], v[26:27]
	scratch_load_b32 v52, off, off offset:316 th:TH_LOAD_LU ; 4-byte Folded Reload
	v_add_f64_e32 v[60:61], v[242:243], v[246:247]
	v_add_f64_e32 v[6:7], v[250:251], v[242:243]
	;; [unrolled: 1-line block ×3, first 2 shown]
	v_fma_f64 v[20:21], v[54:55], s[2:3], v[24:25]
	v_fma_f64 v[24:25], v[54:55], s[10:11], v[24:25]
	v_add_f64_e32 v[58:59], v[240:241], v[244:245]
	v_add_f64_e32 v[4:5], v[248:249], v[240:241]
	s_wait_loadcnt 0x0
	ds_store_b128 v52, v[48:51]
	ds_store_b128 v52, v[20:23] offset:16
	ds_store_b128 v52, v[24:27] offset:32
	scratch_load_b32 v24, off, off offset:312 th:TH_LOAD_LU ; 4-byte Folded Reload
	v_fma_f64 v[20:21], v[66:67], -0.5, v[16:17]
	v_fma_f64 v[22:23], v[68:69], -0.5, v[18:19]
	v_add_f64_e32 v[4:5], v[4:5], v[244:245]
	v_fma_f64 v[244:245], v[122:123], s[2:3], v[8:9]
	v_add_f64_e32 v[6:7], v[6:7], v[246:247]
	v_fma_f64 v[246:247], v[124:125], s[10:11], v[10:11]
	v_fma_f64 v[16:17], v[46:47], s[2:3], v[20:21]
	v_fma_f64 v[18:19], v[44:45], s[10:11], v[22:23]
	v_fma_f64 v[20:21], v[46:47], s[10:11], v[20:21]
	v_fma_f64 v[22:23], v[44:45], s[2:3], v[22:23]
	s_wait_loadcnt 0x0
	ds_store_b128 v24, v[40:43]
	ds_store_b128 v24, v[16:19] offset:16
	ds_store_b128 v24, v[20:23] offset:32
	scratch_load_b32 v20, off, off offset:308 th:TH_LOAD_LU ; 4-byte Folded Reload
	v_fma_f64 v[16:17], v[70:71], -0.5, v[12:13]
	v_fma_f64 v[18:19], v[72:73], -0.5, v[14:15]
	;; [unrolled: 1-line block ×3, first 2 shown]
	s_delay_alu instid0(VALU_DEP_3) | instskip(NEXT) | instid1(VALU_DEP_3)
	v_fma_f64 v[12:13], v[74:75], s[2:3], v[16:17]
	v_fma_f64 v[14:15], v[108:109], s[10:11], v[18:19]
	;; [unrolled: 1-line block ×4, first 2 shown]
	s_wait_loadcnt 0x0
	ds_store_b128 v20, v[32:35]
	ds_store_b128 v20, v[12:15] offset:16
	ds_store_b128 v20, v[16:19] offset:32
	v_fma_f64 v[20:21], v[58:59], -0.5, v[248:249]
	v_fma_f64 v[12:13], v[38:39], s[2:3], v[0:1]
	v_fma_f64 v[16:17], v[38:39], s[10:11], v[0:1]
	;; [unrolled: 1-line block ×10, first 2 shown]
	scratch_load_b32 v20, off, off offset:300 th:TH_LOAD_LU ; 4-byte Folded Reload
	s_wait_loadcnt 0x0
	ds_store_b128 v20, v[28:31]
	ds_store_b128 v20, v[12:15] offset:16
	ds_store_b128 v20, v[16:19] offset:32
	scratch_load_b32 v12, off, off offset:264 th:TH_LOAD_LU ; 4-byte Folded Reload
	s_wait_loadcnt 0x0
	ds_store_b128 v12, v[252:255]
	ds_store_b128 v12, v[244:247] offset:16
	ds_store_b128 v12, v[0:3] offset:32
	s_and_saveexec_b32 s1, vcc_lo
	s_cbranch_execz .LBB0_21
; %bb.20:
	scratch_load_b32 v12, off, off offset:304 th:TH_LOAD_LU ; 4-byte Folded Reload
	s_wait_loadcnt 0x0
	v_lshlrev_b32_e32 v12, 4, v12
	ds_store_b128 v12, v[4:7]
	ds_store_b128 v12, v[8:11] offset:16
	ds_store_b128 v12, v[36:39] offset:32
.LBB0_21:
	s_wait_alu 0xfffe
	s_or_b32 exec_lo, exec_lo, s1
	global_wb scope:SCOPE_SE
	s_wait_dscnt 0x0
	s_barrier_signal -1
	s_barrier_wait -1
	global_inv scope:SCOPE_SE
	ds_load_b128 v[248:251], v56
	ds_load_b128 v[240:243], v56 offset:1728
	ds_load_b128 v[24:27], v56 offset:4608
	;; [unrolled: 1-line block ×11, first 2 shown]
	s_and_saveexec_b32 s1, s0
	s_cbranch_execz .LBB0_23
; %bb.22:
	ds_load_b128 v[252:255], v56 offset:3456
	ds_load_b128 v[244:247], v56 offset:8064
	;; [unrolled: 1-line block ×6, first 2 shown]
.LBB0_23:
	s_wait_alu 0xfffe
	s_or_b32 exec_lo, exec_lo, s1
	scratch_load_b128 v[60:63], off, off offset:336 th:TH_LOAD_LU ; 16-byte Folded Reload
	s_mov_b32 s10, 0xe8584caa
	s_mov_b32 s11, 0xbfebb67a
	;; [unrolled: 1-line block ×3, first 2 shown]
	s_wait_alu 0xfffe
	s_mov_b32 s2, s10
	s_wait_loadcnt_dscnt 0x5
	v_mul_f64_e32 v[58:59], v[62:63], v[48:49]
	s_delay_alu instid0(VALU_DEP_1) | instskip(SKIP_1) | instid1(VALU_DEP_1)
	v_fma_f64 v[58:59], v[60:61], v[50:51], -v[58:59]
	v_mul_f64_e32 v[50:51], v[62:63], v[50:51]
	v_fma_f64 v[48:49], v[60:61], v[48:49], v[50:51]
	s_wait_dscnt 0x1
	v_mul_f64_e32 v[50:51], v[86:87], v[52:53]
	scratch_load_b128 v[60:63], off, off offset:320 th:TH_LOAD_LU ; 16-byte Folded Reload
	v_fma_f64 v[50:51], v[84:85], v[54:55], -v[50:51]
	v_mul_f64_e32 v[54:55], v[86:87], v[54:55]
	s_delay_alu instid0(VALU_DEP_1) | instskip(SKIP_1) | instid1(VALU_DEP_1)
	v_fma_f64 v[52:53], v[84:85], v[52:53], v[54:55]
	v_mul_f64_e32 v[54:55], v[78:79], v[40:41]
	v_fma_f64 v[54:55], v[76:77], v[42:43], -v[54:55]
	v_mul_f64_e32 v[42:43], v[78:79], v[42:43]
	s_delay_alu instid0(VALU_DEP_1) | instskip(SKIP_2) | instid1(VALU_DEP_1)
	v_fma_f64 v[40:41], v[76:77], v[40:41], v[42:43]
	s_wait_dscnt 0x0
	v_mul_f64_e32 v[42:43], v[82:83], v[44:45]
	v_fma_f64 v[42:43], v[80:81], v[46:47], -v[42:43]
	v_mul_f64_e32 v[46:47], v[82:83], v[46:47]
	s_delay_alu instid0(VALU_DEP_1) | instskip(SKIP_1) | instid1(VALU_DEP_1)
	v_fma_f64 v[44:45], v[80:81], v[44:45], v[46:47]
	v_mul_f64_e32 v[46:47], v[134:135], v[4:5]
	v_fma_f64 v[46:47], v[132:133], v[6:7], -v[46:47]
	v_mul_f64_e32 v[6:7], v[134:135], v[6:7]
	s_delay_alu instid0(VALU_DEP_1) | instskip(SKIP_1) | instid1(VALU_DEP_1)
	v_fma_f64 v[68:69], v[132:133], v[4:5], v[6:7]
	v_mul_f64_e32 v[4:5], v[138:139], v[36:37]
	v_fma_f64 v[70:71], v[136:137], v[38:39], -v[4:5]
	v_mul_f64_e32 v[4:5], v[138:139], v[38:39]
	s_delay_alu instid0(VALU_DEP_1) | instskip(SKIP_2) | instid1(VALU_DEP_1)
	v_fma_f64 v[36:37], v[136:137], v[36:37], v[4:5]
	s_wait_loadcnt 0x0
	v_mul_f64_e32 v[4:5], v[62:63], v[30:31]
	v_fma_f64 v[38:39], v[60:61], v[28:29], v[4:5]
	v_mul_f64_e32 v[4:5], v[62:63], v[28:29]
	s_delay_alu instid0(VALU_DEP_1) | instskip(SKIP_2) | instid1(VALU_DEP_1)
	v_fma_f64 v[28:29], v[60:61], v[30:31], -v[4:5]
	scratch_load_b128 v[60:63], off, off offset:268 th:TH_LOAD_LU ; 16-byte Folded Reload
	v_mul_f64_e32 v[4:5], v[98:99], v[34:35]
	v_fma_f64 v[30:31], v[96:97], v[32:33], v[4:5]
	v_mul_f64_e32 v[4:5], v[98:99], v[32:33]
	s_delay_alu instid0(VALU_DEP_1) | instskip(SKIP_2) | instid1(VALU_DEP_1)
	v_fma_f64 v[32:33], v[96:97], v[34:35], -v[4:5]
	s_wait_loadcnt 0x0
	v_mul_f64_e32 v[4:5], v[62:63], v[24:25]
	v_fma_f64 v[34:35], v[60:61], v[26:27], -v[4:5]
	v_mul_f64_e32 v[4:5], v[62:63], v[26:27]
	s_delay_alu instid0(VALU_DEP_1) | instskip(SKIP_1) | instid1(VALU_DEP_1)
	v_fma_f64 v[24:25], v[60:61], v[24:25], v[4:5]
	v_mul_f64_e32 v[4:5], v[90:91], v[18:19]
	v_fma_f64 v[26:27], v[88:89], v[16:17], v[4:5]
	v_mul_f64_e32 v[4:5], v[90:91], v[16:17]
	s_delay_alu instid0(VALU_DEP_1)
	v_fma_f64 v[72:73], v[88:89], v[18:19], -v[4:5]
	scratch_load_b128 v[16:19], off, off offset:284 th:TH_LOAD_LU ; 16-byte Folded Reload
	v_mul_f64_e32 v[4:5], v[94:95], v[22:23]
	global_wb scope:SCOPE_SE
	s_wait_loadcnt 0x0
	s_barrier_signal -1
	s_barrier_wait -1
	global_inv scope:SCOPE_SE
	v_fma_f64 v[74:75], v[92:93], v[20:21], v[4:5]
	v_mul_f64_e32 v[4:5], v[94:95], v[20:21]
	v_add_f64_e64 v[20:21], v[48:49], -v[52:53]
	s_delay_alu instid0(VALU_DEP_2) | instskip(SKIP_1) | instid1(VALU_DEP_1)
	v_fma_f64 v[76:77], v[92:93], v[22:23], -v[4:5]
	v_mul_f64_e32 v[4:5], v[18:19], v[12:13]
	v_fma_f64 v[78:79], v[16:17], v[14:15], -v[4:5]
	v_mul_f64_e32 v[4:5], v[18:19], v[14:15]
	s_delay_alu instid0(VALU_DEP_1) | instskip(SKIP_1) | instid1(VALU_DEP_1)
	v_fma_f64 v[80:81], v[16:17], v[12:13], v[4:5]
	v_mul_f64_e32 v[4:5], v[106:107], v[2:3]
	v_fma_f64 v[82:83], v[104:105], v[0:1], v[4:5]
	v_mul_f64_e32 v[0:1], v[106:107], v[0:1]
	s_delay_alu instid0(VALU_DEP_1) | instskip(SKIP_2) | instid1(VALU_DEP_2)
	v_fma_f64 v[84:85], v[104:105], v[2:3], -v[0:1]
	v_mul_f64_e32 v[0:1], v[114:115], v[10:11]
	v_add_f64_e32 v[2:3], v[250:251], v[28:29]
	v_fma_f64 v[86:87], v[112:113], v[8:9], v[0:1]
	v_mul_f64_e32 v[0:1], v[114:115], v[8:9]
	s_delay_alu instid0(VALU_DEP_3) | instskip(NEXT) | instid1(VALU_DEP_2)
	v_add_f64_e32 v[6:7], v[2:3], v[32:33]
	v_fma_f64 v[88:89], v[112:113], v[10:11], -v[0:1]
	v_mul_f64_e32 v[0:1], v[102:103], v[244:245]
	s_delay_alu instid0(VALU_DEP_1) | instskip(SKIP_1) | instid1(VALU_DEP_1)
	v_fma_f64 v[90:91], v[100:101], v[246:247], -v[0:1]
	v_mul_f64_e32 v[0:1], v[102:103], v[246:247]
	v_fma_f64 v[92:93], v[100:101], v[244:245], v[0:1]
	v_add_f64_e32 v[0:1], v[38:39], v[30:31]
	s_delay_alu instid0(VALU_DEP_1) | instskip(SKIP_2) | instid1(VALU_DEP_2)
	v_fma_f64 v[16:17], v[0:1], -0.5, v[248:249]
	v_add_f64_e32 v[0:1], v[28:29], v[32:33]
	v_add_f64_e64 v[28:29], v[28:29], -v[32:33]
	v_fma_f64 v[18:19], v[0:1], -0.5, v[250:251]
	v_add_f64_e32 v[0:1], v[248:249], v[38:39]
	s_delay_alu instid0(VALU_DEP_1) | instskip(SKIP_2) | instid1(VALU_DEP_2)
	v_add_f64_e32 v[4:5], v[0:1], v[30:31]
	v_add_f64_e32 v[0:1], v[24:25], v[48:49]
	v_add_f64_e64 v[30:31], v[38:39], -v[30:31]
	v_add_f64_e32 v[8:9], v[0:1], v[52:53]
	v_add_f64_e32 v[0:1], v[34:35], v[58:59]
	s_wait_alu 0xfffe
	s_delay_alu instid0(VALU_DEP_3) | instskip(NEXT) | instid1(VALU_DEP_2)
	v_fma_f64 v[38:39], v[30:31], s[2:3], v[18:19]
	v_add_f64_e32 v[10:11], v[0:1], v[50:51]
	s_delay_alu instid0(VALU_DEP_4) | instskip(SKIP_2) | instid1(VALU_DEP_4)
	v_add_f64_e32 v[0:1], v[4:5], v[8:9]
	v_add_f64_e64 v[4:5], v[4:5], -v[8:9]
	v_add_f64_e32 v[8:9], v[48:49], v[52:53]
	v_add_f64_e32 v[2:3], v[6:7], v[10:11]
	v_add_f64_e64 v[6:7], v[6:7], -v[10:11]
	v_add_f64_e32 v[10:11], v[58:59], v[50:51]
	s_delay_alu instid0(VALU_DEP_4) | instskip(NEXT) | instid1(VALU_DEP_2)
	v_fma_f64 v[24:25], v[8:9], -0.5, v[24:25]
	v_fma_f64 v[22:23], v[10:11], -0.5, v[34:35]
	v_add_f64_e64 v[34:35], v[58:59], -v[50:51]
	s_delay_alu instid0(VALU_DEP_2) | instskip(NEXT) | instid1(VALU_DEP_2)
	v_fma_f64 v[8:9], v[20:21], s[2:3], v[22:23]
	v_fma_f64 v[12:13], v[34:35], s[10:11], v[24:25]
	;; [unrolled: 1-line block ×5, first 2 shown]
	v_mul_f64_e32 v[10:11], s[10:11], v[8:9]
	v_mul_f64_e32 v[8:9], 0.5, v[8:9]
	s_delay_alu instid0(VALU_DEP_2) | instskip(NEXT) | instid1(VALU_DEP_2)
	v_fma_f64 v[14:15], v[12:13], 0.5, v[10:11]
	v_fma_f64 v[32:33], v[12:13], s[2:3], v[8:9]
	v_fma_f64 v[12:13], v[28:29], s[10:11], v[16:17]
	v_mul_f64_e32 v[16:17], s[10:11], v[20:21]
	v_fma_f64 v[28:29], v[30:31], s[10:11], v[18:19]
	v_mul_f64_e32 v[18:19], -0.5, v[20:21]
	v_add_f64_e64 v[30:31], v[54:55], -v[42:43]
	v_add_f64_e32 v[10:11], v[38:39], v[32:33]
	v_add_f64_e32 v[8:9], v[12:13], v[14:15]
	v_fma_f64 v[20:21], v[22:23], -0.5, v[16:17]
	v_add_f64_e64 v[12:13], v[12:13], -v[14:15]
	v_fma_f64 v[22:23], v[22:23], s[2:3], v[18:19]
	v_add_f64_e64 v[14:15], v[38:39], -v[32:33]
	v_add_f64_e64 v[32:33], v[72:73], -v[76:77]
	v_add_f64_e32 v[16:17], v[24:25], v[20:21]
	v_add_f64_e64 v[20:21], v[24:25], -v[20:21]
	scratch_load_b32 v24, off, off offset:360 th:TH_LOAD_LU ; 4-byte Folded Reload
	v_add_f64_e32 v[18:19], v[28:29], v[22:23]
	v_add_f64_e64 v[22:23], v[28:29], -v[22:23]
	s_wait_loadcnt 0x0
	ds_store_b128 v24, v[0:3]
	ds_store_b128 v24, v[4:7] offset:144
	ds_store_b128 v24, v[8:11] offset:48
	ds_store_b128 v24, v[16:19] offset:96
	ds_store_b128 v24, v[12:15] offset:192
	ds_store_b128 v24, v[20:23] offset:240
	v_add_f64_e32 v[0:1], v[26:27], v[74:75]
	v_add_f64_e32 v[2:3], v[242:243], v[72:73]
	;; [unrolled: 1-line block ×4, first 2 shown]
	v_add_f64_e64 v[20:21], v[40:41], -v[44:45]
	v_fma_f64 v[16:17], v[0:1], -0.5, v[240:241]
	v_add_f64_e32 v[0:1], v[72:73], v[76:77]
	v_add_f64_e32 v[6:7], v[2:3], v[76:77]
	;; [unrolled: 1-line block ×4, first 2 shown]
	s_delay_alu instid0(VALU_DEP_4) | instskip(SKIP_2) | instid1(VALU_DEP_2)
	v_fma_f64 v[18:19], v[0:1], -0.5, v[242:243]
	v_add_f64_e32 v[0:1], v[240:241], v[26:27]
	v_add_f64_e64 v[26:27], v[26:27], -v[74:75]
	v_add_f64_e32 v[4:5], v[0:1], v[74:75]
	v_add_f64_e32 v[0:1], v[80:81], v[40:41]
	s_delay_alu instid0(VALU_DEP_1) | instskip(SKIP_1) | instid1(VALU_DEP_1)
	v_add_f64_e32 v[8:9], v[0:1], v[44:45]
	v_add_f64_e32 v[0:1], v[78:79], v[54:55]
	;; [unrolled: 1-line block ×3, first 2 shown]
	s_delay_alu instid0(VALU_DEP_3) | instskip(SKIP_2) | instid1(VALU_DEP_4)
	v_add_f64_e32 v[0:1], v[4:5], v[8:9]
	v_add_f64_e64 v[4:5], v[4:5], -v[8:9]
	v_add_f64_e32 v[8:9], v[86:87], v[82:83]
	v_add_f64_e32 v[2:3], v[6:7], v[10:11]
	v_add_f64_e64 v[6:7], v[6:7], -v[10:11]
	v_add_f64_e32 v[10:11], v[84:85], v[254:255]
	s_delay_alu instid0(VALU_DEP_4) | instskip(SKIP_1) | instid1(VALU_DEP_3)
	v_fma_f64 v[24:25], v[8:9], -0.5, v[252:253]
	v_add_f64_e32 v[8:9], v[88:89], v[84:85]
	v_add_f64_e32 v[10:11], v[88:89], v[10:11]
	s_delay_alu instid0(VALU_DEP_2) | instskip(SKIP_1) | instid1(VALU_DEP_3)
	v_fma_f64 v[28:29], v[8:9], -0.5, v[254:255]
	v_add_f64_e32 v[8:9], v[82:83], v[252:253]
	v_add_f64_e32 v[62:63], v[10:11], v[14:15]
	v_add_f64_e64 v[66:67], v[10:11], -v[14:15]
	v_add_f64_e32 v[10:11], v[54:55], v[42:43]
	s_delay_alu instid0(VALU_DEP_4) | instskip(NEXT) | instid1(VALU_DEP_2)
	v_add_f64_e32 v[8:9], v[86:87], v[8:9]
	v_fma_f64 v[22:23], v[10:11], -0.5, v[78:79]
	s_delay_alu instid0(VALU_DEP_2) | instskip(SKIP_4) | instid1(VALU_DEP_3)
	v_add_f64_e32 v[60:61], v[8:9], v[12:13]
	v_add_f64_e64 v[64:65], v[8:9], -v[12:13]
	v_add_f64_e32 v[8:9], v[40:41], v[44:45]
	v_fma_f64 v[40:41], v[26:27], s[2:3], v[18:19]
	v_fma_f64 v[26:27], v[26:27], s[10:11], v[18:19]
	v_fma_f64 v[34:35], v[8:9], -0.5, v[80:81]
	v_fma_f64 v[8:9], v[20:21], s[2:3], v[22:23]
	v_fma_f64 v[20:21], v[20:21], s[10:11], v[22:23]
	s_delay_alu instid0(VALU_DEP_3) | instskip(NEXT) | instid1(VALU_DEP_3)
	v_fma_f64 v[12:13], v[30:31], s[10:11], v[34:35]
	v_mul_f64_e32 v[10:11], s[10:11], v[8:9]
	v_mul_f64_e32 v[8:9], 0.5, v[8:9]
	v_fma_f64 v[22:23], v[30:31], s[2:3], v[34:35]
	v_fma_f64 v[30:31], v[32:33], s[2:3], v[16:17]
	v_mul_f64_e32 v[18:19], -0.5, v[20:21]
	v_add_f64_e64 v[34:35], v[46:47], -v[70:71]
	v_fma_f64 v[14:15], v[12:13], 0.5, v[10:11]
	v_fma_f64 v[38:39], v[12:13], s[2:3], v[8:9]
	v_fma_f64 v[12:13], v[32:33], s[10:11], v[16:17]
	v_mul_f64_e32 v[16:17], s[10:11], v[20:21]
	v_add_f64_e32 v[32:33], v[46:47], v[70:71]
	s_delay_alu instid0(VALU_DEP_4) | instskip(NEXT) | instid1(VALU_DEP_4)
	v_add_f64_e32 v[10:11], v[40:41], v[38:39]
	v_add_f64_e32 v[8:9], v[12:13], v[14:15]
	s_delay_alu instid0(VALU_DEP_4)
	v_fma_f64 v[20:21], v[22:23], -0.5, v[16:17]
	v_fma_f64 v[22:23], v[22:23], s[2:3], v[18:19]
	v_fma_f64 v[32:33], v[32:33], -0.5, v[90:91]
	v_add_f64_e64 v[12:13], v[12:13], -v[14:15]
	v_add_f64_e64 v[14:15], v[40:41], -v[38:39]
	;; [unrolled: 1-line block ×3, first 2 shown]
	v_add_f64_e32 v[16:17], v[30:31], v[20:21]
	v_add_f64_e32 v[18:19], v[26:27], v[22:23]
	v_add_f64_e64 v[20:21], v[30:31], -v[20:21]
	v_add_f64_e64 v[22:23], v[26:27], -v[22:23]
	v_add_f64_e32 v[26:27], v[68:69], v[36:37]
	v_add_f64_e64 v[30:31], v[68:69], -v[36:37]
	v_add_f64_e64 v[36:37], v[84:85], -v[88:89]
	v_fma_f64 v[46:47], v[38:39], s[2:3], v[28:29]
	v_fma_f64 v[28:29], v[38:39], s[10:11], v[28:29]
	v_fma_f64 v[26:27], v[26:27], -0.5, v[92:93]
	v_fma_f64 v[40:41], v[30:31], s[2:3], v[32:33]
	v_fma_f64 v[30:31], v[30:31], s[10:11], v[32:33]
	s_delay_alu instid0(VALU_DEP_3) | instskip(NEXT) | instid1(VALU_DEP_3)
	v_fma_f64 v[44:45], v[34:35], s[10:11], v[26:27]
	v_mul_f64_e32 v[42:43], s[10:11], v[40:41]
	v_mul_f64_e32 v[40:41], 0.5, v[40:41]
	v_fma_f64 v[26:27], v[34:35], s[2:3], v[26:27]
	v_mul_f64_e32 v[32:33], s[10:11], v[30:31]
	v_mul_f64_e32 v[30:31], -0.5, v[30:31]
	v_fma_f64 v[42:43], v[44:45], 0.5, v[42:43]
	v_fma_f64 v[40:41], v[44:45], s[2:3], v[40:41]
	v_fma_f64 v[44:45], v[36:37], s[10:11], v[24:25]
	;; [unrolled: 1-line block ×3, first 2 shown]
	v_fma_f64 v[32:33], v[26:27], -0.5, v[32:33]
	v_fma_f64 v[26:27], v[26:27], s[2:3], v[30:31]
	v_add_f64_e32 v[70:71], v[46:47], v[40:41]
	v_add_f64_e32 v[68:69], v[44:45], v[42:43]
	v_add_f64_e64 v[76:77], v[44:45], -v[42:43]
	v_add_f64_e32 v[72:73], v[24:25], v[32:33]
	v_add_f64_e64 v[80:81], v[24:25], -v[32:33]
	scratch_load_b32 v24, off, off offset:352 th:TH_LOAD_LU ; 4-byte Folded Reload
	v_add_f64_e64 v[78:79], v[46:47], -v[40:41]
	v_add_f64_e32 v[74:75], v[28:29], v[26:27]
	v_add_f64_e64 v[82:83], v[28:29], -v[26:27]
	s_wait_loadcnt 0x0
	ds_store_b128 v24, v[0:3]
	ds_store_b128 v24, v[8:11] offset:48
	ds_store_b128 v24, v[16:19] offset:96
	;; [unrolled: 1-line block ×5, first 2 shown]
	s_and_saveexec_b32 s1, s0
	s_cbranch_execz .LBB0_25
; %bb.24:
	scratch_load_b32 v0, off, off offset:356 th:TH_LOAD_LU ; 4-byte Folded Reload
	s_wait_loadcnt 0x0
	v_and_b32_e32 v0, 0xffff, v0
	s_delay_alu instid0(VALU_DEP_1)
	v_lshlrev_b32_e32 v0, 4, v0
	ds_store_b128 v0, v[60:63]
	ds_store_b128 v0, v[68:71] offset:48
	ds_store_b128 v0, v[72:75] offset:96
	;; [unrolled: 1-line block ×5, first 2 shown]
.LBB0_25:
	s_wait_alu 0xfffe
	s_or_b32 exec_lo, exec_lo, s1
	global_wb scope:SCOPE_SE
	s_wait_dscnt 0x0
	s_barrier_signal -1
	s_barrier_wait -1
	global_inv scope:SCOPE_SE
	ds_load_b128 v[4:7], v56
	ds_load_b128 v[0:3], v56 offset:1728
	ds_load_b128 v[20:23], v56 offset:4608
	ds_load_b128 v[8:11], v56 offset:6336
	ds_load_b128 v[24:27], v56 offset:9216
	ds_load_b128 v[12:15], v56 offset:10944
	ds_load_b128 v[40:43], v56 offset:13824
	ds_load_b128 v[32:35], v56 offset:15552
	ds_load_b128 v[28:31], v56 offset:18432
	ds_load_b128 v[16:19], v56 offset:20160
	ds_load_b128 v[44:47], v56 offset:23040
	ds_load_b128 v[36:39], v56 offset:24768
	s_and_saveexec_b32 s1, s0
	s_cbranch_execz .LBB0_27
; %bb.26:
	ds_load_b128 v[60:63], v56 offset:3456
	ds_load_b128 v[68:71], v56 offset:8064
	;; [unrolled: 1-line block ×6, first 2 shown]
.LBB0_27:
	s_wait_alu 0xfffe
	s_or_b32 exec_lo, exec_lo, s1
	s_wait_dscnt 0x5
	v_mul_f64_e32 v[48:49], v[150:151], v[40:41]
	s_mov_b32 s2, 0xe8584caa
	s_mov_b32 s3, 0xbfebb67a
	;; [unrolled: 1-line block ×3, first 2 shown]
	s_wait_alu 0xfffe
	s_mov_b32 s10, s2
	global_wb scope:SCOPE_SE
	s_wait_dscnt 0x0
	s_barrier_signal -1
	s_barrier_wait -1
	global_inv scope:SCOPE_SE
	v_fma_f64 v[48:49], v[148:149], v[42:43], -v[48:49]
	v_mul_f64_e32 v[42:43], v[150:151], v[42:43]
	s_delay_alu instid0(VALU_DEP_1) | instskip(SKIP_1) | instid1(VALU_DEP_1)
	v_fma_f64 v[40:41], v[148:149], v[40:41], v[42:43]
	v_mul_f64_e32 v[42:43], v[166:167], v[44:45]
	v_fma_f64 v[42:43], v[164:165], v[46:47], -v[42:43]
	v_mul_f64_e32 v[46:47], v[166:167], v[46:47]
	s_delay_alu instid0(VALU_DEP_1) | instskip(SKIP_1) | instid1(VALU_DEP_1)
	v_fma_f64 v[44:45], v[164:165], v[44:45], v[46:47]
	v_mul_f64_e32 v[46:47], v[158:159], v[32:33]
	;; [unrolled: 5-line block ×4, first 2 shown]
	v_fma_f64 v[38:39], v[152:153], v[24:25], v[38:39]
	v_mul_f64_e32 v[24:25], v[154:155], v[24:25]
	s_delay_alu instid0(VALU_DEP_1) | instskip(SKIP_1) | instid1(VALU_DEP_1)
	v_fma_f64 v[24:25], v[152:153], v[26:27], -v[24:25]
	v_mul_f64_e32 v[26:27], v[194:195], v[30:31]
	v_fma_f64 v[26:27], v[192:193], v[28:29], v[26:27]
	v_mul_f64_e32 v[28:29], v[194:195], v[28:29]
	s_delay_alu instid0(VALU_DEP_1) | instskip(SKIP_1) | instid1(VALU_DEP_1)
	v_fma_f64 v[28:29], v[192:193], v[30:31], -v[28:29]
	v_mul_f64_e32 v[30:31], v[142:143], v[20:21]
	v_fma_f64 v[30:31], v[140:141], v[22:23], -v[30:31]
	v_mul_f64_e32 v[22:23], v[142:143], v[22:23]
	s_delay_alu instid0(VALU_DEP_1) | instskip(SKIP_1) | instid1(VALU_DEP_1)
	v_fma_f64 v[20:21], v[140:141], v[20:21], v[22:23]
	v_mul_f64_e32 v[22:23], v[186:187], v[14:15]
	v_fma_f64 v[50:51], v[184:185], v[12:13], v[22:23]
	v_mul_f64_e32 v[12:13], v[186:187], v[12:13]
	s_delay_alu instid0(VALU_DEP_1) | instskip(SKIP_1) | instid1(VALU_DEP_1)
	v_fma_f64 v[52:53], v[184:185], v[14:15], -v[12:13]
	v_mul_f64_e32 v[12:13], v[190:191], v[18:19]
	v_fma_f64 v[54:55], v[188:189], v[16:17], v[12:13]
	v_mul_f64_e32 v[12:13], v[190:191], v[16:17]
	s_delay_alu instid0(VALU_DEP_1) | instskip(SKIP_1) | instid1(VALU_DEP_1)
	v_fma_f64 v[58:59], v[188:189], v[18:19], -v[12:13]
	v_mul_f64_e32 v[12:13], v[146:147], v[8:9]
	v_fma_f64 v[84:85], v[144:145], v[10:11], -v[12:13]
	v_mul_f64_e32 v[10:11], v[146:147], v[10:11]
	s_delay_alu instid0(VALU_DEP_1) | instskip(SKIP_1) | instid1(VALU_DEP_1)
	v_fma_f64 v[86:87], v[144:145], v[8:9], v[10:11]
	v_add_f64_e32 v[8:9], v[38:39], v[26:27]
	v_fma_f64 v[88:89], v[8:9], -0.5, v[4:5]
	v_add_f64_e32 v[8:9], v[24:25], v[28:29]
	v_add_f64_e32 v[4:5], v[4:5], v[38:39]
	s_delay_alu instid0(VALU_DEP_2) | instskip(NEXT) | instid1(VALU_DEP_2)
	v_fma_f64 v[90:91], v[8:9], -0.5, v[6:7]
	v_add_f64_e32 v[8:9], v[4:5], v[26:27]
	v_add_f64_e32 v[4:5], v[20:21], v[40:41]
	;; [unrolled: 1-line block ×3, first 2 shown]
	v_add_f64_e64 v[24:25], v[24:25], -v[28:29]
	v_add_f64_e64 v[26:27], v[38:39], -v[26:27]
	s_delay_alu instid0(VALU_DEP_4) | instskip(SKIP_2) | instid1(VALU_DEP_2)
	v_add_f64_e32 v[12:13], v[4:5], v[44:45]
	v_add_f64_e32 v[4:5], v[30:31], v[48:49]
	v_add_f64_e32 v[10:11], v[6:7], v[28:29]
	v_add_f64_e32 v[14:15], v[4:5], v[42:43]
	s_delay_alu instid0(VALU_DEP_4) | instskip(SKIP_2) | instid1(VALU_DEP_4)
	v_add_f64_e32 v[4:5], v[8:9], v[12:13]
	v_add_f64_e64 v[8:9], v[8:9], -v[12:13]
	v_add_f64_e32 v[12:13], v[50:51], v[54:55]
	v_add_f64_e32 v[6:7], v[10:11], v[14:15]
	v_add_f64_e64 v[10:11], v[10:11], -v[14:15]
	s_delay_alu instid0(VALU_DEP_3) | instskip(SKIP_2) | instid1(VALU_DEP_2)
	v_fma_f64 v[92:93], v[12:13], -0.5, v[0:1]
	v_add_f64_e32 v[12:13], v[52:53], v[58:59]
	v_add_f64_e32 v[0:1], v[0:1], v[50:51]
	v_fma_f64 v[94:95], v[12:13], -0.5, v[2:3]
	s_delay_alu instid0(VALU_DEP_2) | instskip(SKIP_2) | instid1(VALU_DEP_2)
	v_add_f64_e32 v[12:13], v[0:1], v[54:55]
	v_add_f64_e32 v[0:1], v[86:87], v[32:33]
	;; [unrolled: 1-line block ×5, first 2 shown]
	s_delay_alu instid0(VALU_DEP_3) | instskip(NEXT) | instid1(VALU_DEP_2)
	v_add_f64_e32 v[14:15], v[2:3], v[58:59]
	v_add_f64_e32 v[18:19], v[0:1], v[34:35]
	s_delay_alu instid0(VALU_DEP_4)
	v_add_f64_e32 v[0:1], v[12:13], v[16:17]
	v_add_f64_e64 v[12:13], v[12:13], -v[16:17]
	v_add_f64_e32 v[16:17], v[40:41], v[44:45]
	v_add_f64_e64 v[40:41], v[40:41], -v[44:45]
	s_wait_alu 0xfffe
	v_fma_f64 v[44:45], v[26:27], s[10:11], v[90:91]
	v_add_f64_e32 v[2:3], v[14:15], v[18:19]
	v_add_f64_e64 v[14:15], v[14:15], -v[18:19]
	v_add_f64_e32 v[18:19], v[48:49], v[42:43]
	v_add_f64_e64 v[42:43], v[48:49], -v[42:43]
	v_fma_f64 v[28:29], v[16:17], -0.5, v[20:21]
	v_add_f64_e64 v[48:49], v[50:51], -v[54:55]
	s_delay_alu instid0(VALU_DEP_4) | instskip(NEXT) | instid1(VALU_DEP_3)
	v_fma_f64 v[30:31], v[18:19], -0.5, v[30:31]
	v_fma_f64 v[20:21], v[42:43], s[2:3], v[28:29]
	v_fma_f64 v[28:29], v[42:43], s[10:11], v[28:29]
	s_delay_alu instid0(VALU_DEP_4) | instskip(NEXT) | instid1(VALU_DEP_4)
	v_fma_f64 v[54:55], v[48:49], s[10:11], v[94:95]
	v_fma_f64 v[16:17], v[40:41], s[10:11], v[30:31]
	;; [unrolled: 1-line block ×4, first 2 shown]
	s_delay_alu instid0(VALU_DEP_3) | instskip(SKIP_1) | instid1(VALU_DEP_4)
	v_mul_f64_e32 v[18:19], s[2:3], v[16:17]
	v_mul_f64_e32 v[16:17], 0.5, v[16:17]
	v_mul_f64_e32 v[26:27], -0.5, v[30:31]
	s_delay_alu instid0(VALU_DEP_3) | instskip(NEXT) | instid1(VALU_DEP_3)
	v_fma_f64 v[22:23], v[20:21], 0.5, v[18:19]
	v_fma_f64 v[38:39], v[20:21], s[10:11], v[16:17]
	v_fma_f64 v[20:21], v[24:25], s[2:3], v[88:89]
	s_delay_alu instid0(VALU_DEP_4) | instskip(NEXT) | instid1(VALU_DEP_3)
	v_fma_f64 v[42:43], v[28:29], s[10:11], v[26:27]
	v_add_f64_e32 v[18:19], v[44:45], v[38:39]
	s_delay_alu instid0(VALU_DEP_3)
	v_add_f64_e32 v[16:17], v[20:21], v[22:23]
	v_add_f64_e64 v[20:21], v[20:21], -v[22:23]
	v_add_f64_e64 v[22:23], v[44:45], -v[38:39]
	v_fma_f64 v[38:39], v[24:25], s[10:11], v[88:89]
	v_mul_f64_e32 v[24:25], s[2:3], v[30:31]
	v_add_f64_e32 v[26:27], v[40:41], v[42:43]
	v_add_f64_e64 v[44:45], v[46:47], -v[34:35]
	s_delay_alu instid0(VALU_DEP_3) | instskip(NEXT) | instid1(VALU_DEP_1)
	v_fma_f64 v[30:31], v[28:29], -0.5, v[24:25]
	v_add_f64_e32 v[24:25], v[38:39], v[30:31]
	v_add_f64_e64 v[28:29], v[38:39], -v[30:31]
	v_add_f64_e64 v[30:31], v[40:41], -v[42:43]
	ds_store_b128 v57, v[4:7]
	ds_store_b128 v57, v[8:11] offset:864
	ds_store_b128 v57, v[16:19] offset:288
	;; [unrolled: 1-line block ×5, first 2 shown]
	scratch_load_b32 v4, off, off offset:368 th:TH_LOAD_LU ; 4-byte Folded Reload
	v_add_f64_e32 v[38:39], v[32:33], v[36:37]
	v_add_f64_e64 v[40:41], v[32:33], -v[36:37]
	v_add_f64_e32 v[32:33], v[46:47], v[34:35]
	v_add_f64_e64 v[46:47], v[52:53], -v[58:59]
	s_delay_alu instid0(VALU_DEP_4) | instskip(NEXT) | instid1(VALU_DEP_3)
	v_fma_f64 v[50:51], v[38:39], -0.5, v[86:87]
	v_fma_f64 v[42:43], v[32:33], -0.5, v[84:85]
	s_delay_alu instid0(VALU_DEP_2) | instskip(NEXT) | instid1(VALU_DEP_2)
	v_fma_f64 v[36:37], v[44:45], s[2:3], v[50:51]
	v_fma_f64 v[32:33], v[40:41], s[10:11], v[42:43]
	v_fma_f64 v[40:41], v[40:41], s[2:3], v[42:43]
	v_fma_f64 v[42:43], v[44:45], s[10:11], v[50:51]
	v_fma_f64 v[44:45], v[46:47], s[10:11], v[92:93]
	s_delay_alu instid0(VALU_DEP_4) | instskip(SKIP_1) | instid1(VALU_DEP_2)
	v_mul_f64_e32 v[34:35], s[2:3], v[32:33]
	v_mul_f64_e32 v[32:33], 0.5, v[32:33]
	v_fma_f64 v[38:39], v[36:37], 0.5, v[34:35]
	s_delay_alu instid0(VALU_DEP_2)
	v_fma_f64 v[52:53], v[36:37], s[10:11], v[32:33]
	v_fma_f64 v[36:37], v[46:47], s[2:3], v[92:93]
	v_fma_f64 v[46:47], v[48:49], s[2:3], v[94:95]
	v_mul_f64_e32 v[48:49], s[2:3], v[40:41]
	v_mul_f64_e32 v[40:41], -0.5, v[40:41]
	v_add_f64_e32 v[34:35], v[54:55], v[52:53]
	v_add_f64_e32 v[32:33], v[36:37], v[38:39]
	v_add_f64_e64 v[36:37], v[36:37], -v[38:39]
	v_fma_f64 v[48:49], v[42:43], -0.5, v[48:49]
	v_fma_f64 v[50:51], v[42:43], s[10:11], v[40:41]
	v_add_f64_e64 v[38:39], v[54:55], -v[52:53]
	s_delay_alu instid0(VALU_DEP_3) | instskip(NEXT) | instid1(VALU_DEP_3)
	v_add_f64_e32 v[40:41], v[44:45], v[48:49]
	v_add_f64_e32 v[42:43], v[46:47], v[50:51]
	v_add_f64_e64 v[44:45], v[44:45], -v[48:49]
	v_add_f64_e64 v[46:47], v[46:47], -v[50:51]
	s_wait_loadcnt 0x0
	ds_store_b128 v4, v[0:3]
	ds_store_b128 v4, v[32:35] offset:288
	ds_store_b128 v4, v[40:43] offset:576
	;; [unrolled: 1-line block ×5, first 2 shown]
	s_and_saveexec_b32 s1, s0
	s_cbranch_execz .LBB0_29
; %bb.28:
	s_clause 0x2
	scratch_load_b128 v[20:23], off, off offset:372 th:TH_LOAD_LU
	scratch_load_b128 v[26:29], off, off offset:404 th:TH_LOAD_LU
	;; [unrolled: 1-line block ×3, first 2 shown]
	s_wait_loadcnt 0x2
	v_mul_f64_e32 v[0:1], v[22:23], v[64:65]
	v_mul_f64_e32 v[4:5], v[22:23], v[66:67]
	scratch_load_b128 v[22:25], off, off offset:388 th:TH_LOAD_LU ; 16-byte Folded Reload
	s_wait_loadcnt 0x2
	v_mul_f64_e32 v[2:3], v[28:29], v[80:81]
	v_mul_f64_e32 v[6:7], v[28:29], v[82:83]
	scratch_load_b128 v[28:31], off, off offset:420 th:TH_LOAD_LU ; 16-byte Folded Reload
	s_wait_loadcnt 0x2
	v_mul_f64_e32 v[12:13], v[34:35], v[76:77]
	v_mul_f64_e32 v[16:17], v[34:35], v[78:79]
	v_fma_f64 v[0:1], v[20:21], v[66:67], -v[0:1]
	v_fma_f64 v[4:5], v[20:21], v[64:65], v[4:5]
	v_fma_f64 v[2:3], v[26:27], v[82:83], -v[2:3]
	v_fma_f64 v[6:7], v[26:27], v[80:81], v[6:7]
	v_fma_f64 v[12:13], v[32:33], v[78:79], -v[12:13]
	v_fma_f64 v[16:17], v[32:33], v[76:77], v[16:17]
	s_delay_alu instid0(VALU_DEP_4)
	v_add_f64_e32 v[20:21], v[0:1], v[2:3]
	s_wait_loadcnt 0x1
	v_mul_f64_e32 v[8:9], v[24:25], v[68:69]
	v_mul_f64_e32 v[18:19], v[24:25], v[70:71]
	v_add_f64_e64 v[24:25], v[4:5], -v[6:7]
	s_wait_loadcnt 0x0
	v_mul_f64_e32 v[10:11], v[30:31], v[72:73]
	v_mul_f64_e32 v[14:15], v[30:31], v[74:75]
	v_fma_f64 v[8:9], v[22:23], v[70:71], -v[8:9]
	v_fma_f64 v[18:19], v[22:23], v[68:69], v[18:19]
	v_add_f64_e32 v[22:23], v[4:5], v[6:7]
	v_fma_f64 v[10:11], v[28:29], v[74:75], -v[10:11]
	v_fma_f64 v[14:15], v[28:29], v[72:73], v[14:15]
	v_add_f64_e64 v[28:29], v[0:1], -v[2:3]
	v_fma_f64 v[20:21], v[20:21], -0.5, v[8:9]
	v_add_f64_e32 v[0:1], v[0:1], v[8:9]
	v_fma_f64 v[22:23], v[22:23], -0.5, v[18:19]
	v_add_f64_e32 v[26:27], v[12:13], v[10:11]
	v_add_f64_e32 v[30:31], v[16:17], v[14:15]
	;; [unrolled: 1-line block ×3, first 2 shown]
	v_add_f64_e64 v[8:9], v[10:11], -v[12:13]
	v_add_f64_e32 v[10:11], v[14:15], v[60:61]
	v_add_f64_e32 v[4:5], v[4:5], v[18:19]
	v_fma_f64 v[32:33], v[24:25], s[2:3], v[20:21]
	v_fma_f64 v[20:21], v[24:25], s[10:11], v[20:21]
	v_add_f64_e64 v[24:25], v[14:15], -v[16:17]
	v_fma_f64 v[14:15], v[26:27], -0.5, v[62:63]
	v_fma_f64 v[26:27], v[28:29], s[10:11], v[22:23]
	v_fma_f64 v[22:23], v[28:29], s[2:3], v[22:23]
	v_fma_f64 v[18:19], v[30:31], -0.5, v[60:61]
	v_add_f64_e32 v[10:11], v[16:17], v[10:11]
	v_add_f64_e32 v[12:13], v[12:13], v[34:35]
	;; [unrolled: 1-line block ×4, first 2 shown]
	v_mul_f64_e32 v[30:31], -0.5, v[32:33]
	v_mul_f64_e32 v[28:29], 0.5, v[20:21]
	v_mul_f64_e32 v[20:21], s[2:3], v[20:21]
	v_fma_f64 v[16:17], v[24:25], s[2:3], v[14:15]
	v_fma_f64 v[24:25], v[24:25], s[10:11], v[14:15]
	v_mul_f64_e32 v[32:33], s[2:3], v[32:33]
	v_fma_f64 v[36:37], v[8:9], s[10:11], v[18:19]
	v_fma_f64 v[8:9], v[8:9], s[2:3], v[18:19]
	v_add_f64_e32 v[6:7], v[12:13], v[34:35]
	v_add_f64_e64 v[0:1], v[10:11], -v[4:5]
	v_add_f64_e32 v[4:5], v[10:11], v[4:5]
	v_add_f64_e64 v[2:3], v[12:13], -v[34:35]
	v_fma_f64 v[14:15], v[26:27], s[10:11], v[30:31]
	v_fma_f64 v[28:29], v[22:23], s[10:11], v[28:29]
	v_fma_f64 v[20:21], v[22:23], 0.5, v[20:21]
	v_fma_f64 v[26:27], v[26:27], -0.5, v[32:33]
	s_delay_alu instid0(VALU_DEP_4) | instskip(NEXT) | instid1(VALU_DEP_4)
	v_add_f64_e64 v[10:11], v[16:17], -v[14:15]
	v_add_f64_e32 v[18:19], v[24:25], v[28:29]
	v_add_f64_e64 v[22:23], v[24:25], -v[28:29]
	scratch_load_b32 v24, off, off offset:364 th:TH_LOAD_LU ; 4-byte Folded Reload
	v_add_f64_e32 v[14:15], v[16:17], v[14:15]
	v_add_f64_e32 v[16:17], v[8:9], v[20:21]
	;; [unrolled: 1-line block ×3, first 2 shown]
	v_add_f64_e64 v[20:21], v[8:9], -v[20:21]
	v_add_f64_e64 v[8:9], v[36:37], -v[26:27]
	s_wait_loadcnt 0x0
	v_and_b32_e32 v24, 0xffff, v24
	s_delay_alu instid0(VALU_DEP_1)
	v_lshlrev_b32_e32 v24, 4, v24
	ds_store_b128 v24, v[4:7]
	ds_store_b128 v24, v[16:19] offset:288
	ds_store_b128 v24, v[12:15] offset:576
	;; [unrolled: 1-line block ×5, first 2 shown]
.LBB0_29:
	s_wait_alu 0xfffe
	s_or_b32 exec_lo, exec_lo, s1
	global_wb scope:SCOPE_SE
	s_wait_dscnt 0x0
	s_barrier_signal -1
	s_barrier_wait -1
	global_inv scope:SCOPE_SE
	ds_load_b128 v[0:3], v56 offset:1728
	ds_load_b128 v[4:7], v56 offset:3456
	;; [unrolled: 1-line block ×15, first 2 shown]
	s_mov_b32 s0, 0x667f3bcd
	s_mov_b32 s1, 0xbfe6a09e
	;; [unrolled: 1-line block ×3, first 2 shown]
	s_wait_alu 0xfffe
	s_mov_b32 s2, s0
	s_mov_b32 s10, 0xcf328d46
	s_wait_dscnt 0xe
	v_mul_f64_e32 v[61:62], v[178:179], v[2:3]
	v_mul_f64_e32 v[63:64], v[178:179], v[0:1]
	s_wait_dscnt 0xd
	v_mul_f64_e32 v[65:66], v[174:175], v[6:7]
	v_mul_f64_e32 v[67:68], v[174:175], v[4:5]
	;; [unrolled: 3-line block ×9, first 2 shown]
	v_mul_f64_e32 v[97:98], v[222:223], v[38:39]
	v_mul_f64_e32 v[99:100], v[222:223], v[36:37]
	s_wait_dscnt 0x1
	v_mul_f64_e32 v[101:102], v[234:235], v[54:55]
	v_mul_f64_e32 v[103:104], v[234:235], v[52:53]
	;; [unrolled: 1-line block ×8, first 2 shown]
	s_wait_dscnt 0x0
	v_mul_f64_e32 v[117:118], v[238:239], v[57:58]
	v_mul_f64_e32 v[119:120], v[238:239], v[59:60]
	s_mov_b32 s11, 0xbfed906b
	s_mov_b32 s17, 0x3fed906b
	s_wait_alu 0xfffe
	s_mov_b32 s16, s10
	s_mov_b32 s12, 0xa6aea964
	s_mov_b32 s13, 0x3fd87de2
	s_mov_b32 s15, 0xbfd87de2
	s_wait_alu 0xfffe
	s_mov_b32 s14, s12
	v_fma_f64 v[61:62], v[176:177], v[0:1], v[61:62]
	v_fma_f64 v[63:64], v[176:177], v[2:3], -v[63:64]
	v_fma_f64 v[4:5], v[172:173], v[4:5], v[65:66]
	v_fma_f64 v[6:7], v[172:173], v[6:7], -v[67:68]
	;; [unrolled: 2-line block ×14, first 2 shown]
	v_fma_f64 v[59:60], v[236:237], v[59:60], -v[117:118]
	v_fma_f64 v[57:58], v[236:237], v[57:58], v[119:120]
	ds_load_b128 v[0:3], v56
	s_wait_dscnt 0x0
	v_add_f64_e64 v[28:29], v[0:1], -v[28:29]
	v_add_f64_e64 v[30:31], v[2:3], -v[30:31]
	;; [unrolled: 1-line block ×16, first 2 shown]
	v_fma_f64 v[0:1], v[0:1], 2.0, -v[28:29]
	v_fma_f64 v[2:3], v[2:3], 2.0, -v[30:31]
	;; [unrolled: 1-line block ×8, first 2 shown]
	v_add_f64_e32 v[65:66], v[28:29], v[46:47]
	v_add_f64_e64 v[67:68], v[30:31], -v[44:45]
	v_add_f64_e64 v[75:76], v[34:35], -v[48:49]
	v_add_f64_e32 v[73:74], v[32:33], v[50:51]
	v_fma_f64 v[44:45], v[61:62], 2.0, -v[32:33]
	v_fma_f64 v[46:47], v[63:64], 2.0, -v[34:35]
	v_add_f64_e32 v[77:78], v[40:41], v[59:60]
	v_add_f64_e64 v[79:80], v[42:43], -v[57:58]
	v_fma_f64 v[16:17], v[16:17], 2.0, -v[48:49]
	v_fma_f64 v[18:19], v[18:19], 2.0, -v[50:51]
	;; [unrolled: 1-line block ×6, first 2 shown]
	v_add_f64_e32 v[69:70], v[36:37], v[54:55]
	v_add_f64_e64 v[71:72], v[38:39], -v[52:53]
	v_add_f64_e64 v[12:13], v[0:1], -v[12:13]
	;; [unrolled: 1-line block ×5, first 2 shown]
	v_fma_f64 v[28:29], v[28:29], 2.0, -v[65:66]
	v_fma_f64 v[30:31], v[30:31], 2.0, -v[67:68]
	;; [unrolled: 1-line block ×6, first 2 shown]
	v_add_f64_e64 v[16:17], v[44:45], -v[16:17]
	v_add_f64_e64 v[18:19], v[46:47], -v[18:19]
	v_fma_f64 v[52:53], v[77:78], s[2:3], v[73:74]
	v_fma_f64 v[54:55], v[79:80], s[2:3], v[75:76]
	v_add_f64_e64 v[26:27], v[10:11], -v[26:27]
	v_add_f64_e64 v[24:25], v[8:9], -v[24:25]
	v_fma_f64 v[36:37], v[36:37], 2.0, -v[69:70]
	v_fma_f64 v[38:39], v[38:39], 2.0, -v[71:72]
	v_fma_f64 v[48:49], v[69:70], s[2:3], v[65:66]
	v_fma_f64 v[50:51], v[71:72], s[2:3], v[67:68]
	v_fma_f64 v[0:1], v[0:1], 2.0, -v[12:13]
	v_fma_f64 v[2:3], v[2:3], 2.0, -v[14:15]
	;; [unrolled: 1-line block ×4, first 2 shown]
	v_add_f64_e32 v[81:82], v[12:13], v[22:23]
	v_add_f64_e64 v[83:84], v[14:15], -v[20:21]
	v_fma_f64 v[61:62], v[40:41], s[0:1], v[32:33]
	v_fma_f64 v[63:64], v[42:43], s[0:1], v[34:35]
	v_fma_f64 v[44:45], v[44:45], 2.0, -v[16:17]
	v_fma_f64 v[46:47], v[46:47], 2.0, -v[18:19]
	v_fma_f64 v[52:53], v[79:80], s[2:3], v[52:53]
	v_fma_f64 v[54:55], v[77:78], s[0:1], v[54:55]
	v_add_f64_e32 v[20:21], v[16:17], v[26:27]
	v_add_f64_e64 v[22:23], v[18:19], -v[24:25]
	v_fma_f64 v[8:9], v[8:9], 2.0, -v[24:25]
	v_fma_f64 v[10:11], v[10:11], 2.0, -v[26:27]
	v_fma_f64 v[57:58], v[36:37], s[0:1], v[28:29]
	v_fma_f64 v[59:60], v[38:39], s[0:1], v[30:31]
	;; [unrolled: 1-line block ×6, first 2 shown]
	v_add_f64_e64 v[40:41], v[0:1], -v[4:5]
	v_add_f64_e64 v[42:43], v[2:3], -v[6:7]
	v_fma_f64 v[61:62], v[12:13], 2.0, -v[81:82]
	v_fma_f64 v[63:64], v[14:15], 2.0, -v[83:84]
	;; [unrolled: 1-line block ×6, first 2 shown]
	v_fma_f64 v[57:58], v[38:39], s[2:3], v[57:58]
	v_fma_f64 v[59:60], v[36:37], s[0:1], v[59:60]
	v_fma_f64 v[65:66], v[65:66], 2.0, -v[48:49]
	v_fma_f64 v[67:68], v[67:68], 2.0, -v[50:51]
	v_add_f64_e64 v[36:37], v[44:45], -v[8:9]
	v_add_f64_e64 v[8:9], v[46:47], -v[10:11]
	v_fma_f64 v[4:5], v[20:21], s[2:3], v[81:82]
	v_fma_f64 v[6:7], v[22:23], s[2:3], v[83:84]
	v_fma_f64 v[10:11], v[52:53], s[16:17], v[48:49]
	v_fma_f64 v[73:74], v[0:1], 2.0, -v[40:41]
	v_fma_f64 v[75:76], v[2:3], 2.0, -v[42:43]
	s_clause 0x2
	scratch_load_b64 v[0:1], off, off offset:220 th:TH_LOAD_LU
	scratch_load_b32 v3, off, off offset:228 th:TH_LOAD_LU
	scratch_load_b32 v141, off, off offset:8 th:TH_LOAD_LU
	v_fma_f64 v[38:39], v[12:13], s[0:1], v[63:64]
	v_fma_f64 v[69:70], v[28:29], 2.0, -v[57:58]
	v_fma_f64 v[71:72], v[30:31], 2.0, -v[59:60]
	;; [unrolled: 1-line block ×4, first 2 shown]
	v_fma_f64 v[32:33], v[54:55], s[16:17], v[50:51]
	v_fma_f64 v[34:35], v[14:15], s[0:1], v[61:62]
	s_wait_alu 0xfffe
	v_fma_f64 v[77:78], v[18:19], s[14:15], v[65:66]
	v_fma_f64 v[79:80], v[16:17], s[14:15], v[67:68]
	;; [unrolled: 1-line block ×4, first 2 shown]
	v_fma_f64 v[44:45], v[44:45], 2.0, -v[36:37]
	v_fma_f64 v[46:47], v[46:47], 2.0, -v[8:9]
	v_add_f64_e32 v[8:9], v[40:41], v[8:9]
	v_fma_f64 v[14:15], v[14:15], s[0:1], v[38:39]
	v_fma_f64 v[89:90], v[30:31], s[10:11], v[69:70]
	;; [unrolled: 1-line block ×6, first 2 shown]
	v_fma_f64 v[40:41], v[40:41], 2.0, -v[8:9]
	v_fma_f64 v[28:29], v[28:29], s[12:13], v[89:90]
	v_fma_f64 v[30:31], v[30:31], s[14:15], v[91:92]
	s_wait_loadcnt 0x1
	v_mad_co_u64_u32 v[95:96], null, s4, v3, 0
	s_delay_alu instid0(VALU_DEP_1) | instskip(NEXT) | instid1(VALU_DEP_1)
	v_dual_mov_b32 v2, v0 :: v_dual_mov_b32 v1, v96
	v_mad_co_u64_u32 v[93:94], null, s6, v2, 0
	s_delay_alu instid0(VALU_DEP_1) | instskip(NEXT) | instid1(VALU_DEP_1)
	v_mov_b32_e32 v0, v94
	v_mad_co_u64_u32 v[96:97], null, s7, v2, v[0:1]
	v_mad_co_u64_u32 v[97:98], null, s5, v3, v[1:2]
	v_fma_f64 v[0:1], v[22:23], s[2:3], v[4:5]
	v_fma_f64 v[2:3], v[20:21], s[0:1], v[6:7]
	;; [unrolled: 1-line block ×4, first 2 shown]
	v_add_f64_e64 v[10:11], v[42:43], -v[36:37]
	v_fma_f64 v[20:21], v[26:27], s[16:17], v[85:86]
	v_fma_f64 v[22:23], v[24:25], s[10:11], v[87:88]
	v_add_f64_e64 v[24:25], v[73:74], -v[44:45]
	v_add_f64_e64 v[26:27], v[75:76], -v[46:47]
	v_mov_b32_e32 v94, v96
	v_mov_b32_e32 v96, v97
	v_fma_f64 v[44:45], v[61:62], 2.0, -v[12:13]
	v_fma_f64 v[46:47], v[63:64], 2.0, -v[14:15]
	;; [unrolled: 1-line block ×3, first 2 shown]
	v_lshlrev_b64_e32 v[32:33], 4, v[93:94]
	v_lshlrev_b64_e32 v[34:35], 4, v[95:96]
	v_fma_f64 v[63:64], v[71:72], 2.0, -v[30:31]
	s_mul_u64 s[2:3], s[4:5], 0x240
	s_mov_b32 s6, 0xbda12f68
	s_wait_alu 0xfffe
	s_lshl_b64 s[2:3], s[2:3], 4
	v_add_co_u32 v139, s0, s8, v32
	s_wait_alu 0xf1ff
	v_add_co_ci_u32_e64 v140, s0, s9, v33, s0
	s_mul_i32 s8, s5, 0xffffe2c0
	s_delay_alu instid0(VALU_DEP_2) | instskip(SKIP_1) | instid1(VALU_DEP_2)
	v_add_co_u32 v77, s0, v139, v34
	s_wait_alu 0xf1ff
	v_add_co_ci_u32_e64 v78, s0, v140, v35, s0
	s_wait_alu 0xfffe
	s_sub_co_i32 s8, s8, s4
	s_mov_b32 s7, 0x3f42f684
	s_wait_loadcnt 0x0
	v_mad_co_u64_u32 v[69:70], null, s4, v141, 0
	v_fma_f64 v[32:33], v[81:82], 2.0, -v[0:1]
	v_fma_f64 v[34:35], v[83:84], 2.0, -v[2:3]
	;; [unrolled: 1-line block ×11, first 2 shown]
	ds_store_b128 v56, v[0:3] offset:24192
	ds_store_b128 v56, v[4:7] offset:25920
	;; [unrolled: 1-line block ×14, first 2 shown]
	ds_store_b128 v56, v[57:60]
	ds_store_b128 v56, v[61:64] offset:1728
	global_wb scope:SCOPE_SE
	s_wait_dscnt 0x0
	s_barrier_signal -1
	s_barrier_wait -1
	global_inv scope:SCOPE_SE
	ds_load_b128 v[0:3], v56
	ds_load_b128 v[4:7], v56 offset:9216
	ds_load_b128 v[8:11], v56 offset:18432
	;; [unrolled: 1-line block ×14, first 2 shown]
	s_clause 0x6
	scratch_load_b128 v[162:165], off, off offset:108 th:TH_LOAD_LU
	scratch_load_b128 v[170:173], off, off offset:156 th:TH_LOAD_LU
	;; [unrolled: 1-line block ×7, first 2 shown]
	v_add_co_u32 v65, s0, v77, s2
	s_wait_alu 0xf1ff
	v_add_co_ci_u32_e64 v66, s0, s3, v78, s0
	s_movk_i32 s0, 0xfbec
	s_mov_b32 s1, -1
	s_delay_alu instid0(VALU_DEP_1) | instskip(SKIP_2) | instid1(VALU_DEP_1)
	v_mad_co_u64_u32 v[67:68], null, 0xffffe2c0, s4, v[65:66]
	s_wait_alu 0xfffe
	s_mul_u64 s[0:1], s[4:5], s[0:1]
	v_add_nc_u32_e32 v68, s8, v68
	s_wait_alu 0xfffe
	s_lshl_b64 s[8:9], s[0:1], 4
	s_delay_alu instid0(VALU_DEP_2) | instskip(SKIP_2) | instid1(VALU_DEP_2)
	v_add_co_u32 v71, s0, v67, s2
	s_wait_alu 0xf1ff
	v_add_co_ci_u32_e64 v72, s0, s3, v68, s0
	v_add_co_u32 v73, s0, v71, s2
	s_wait_alu 0xf1ff
	s_delay_alu instid0(VALU_DEP_2) | instskip(SKIP_1) | instid1(VALU_DEP_2)
	v_add_co_ci_u32_e64 v74, s0, s3, v72, s0
	s_wait_alu 0xfffe
	v_add_co_u32 v75, s0, v73, s8
	s_wait_alu 0xf1ff
	s_delay_alu instid0(VALU_DEP_2) | instskip(NEXT) | instid1(VALU_DEP_2)
	v_add_co_ci_u32_e64 v76, s0, s9, v74, s0
	v_add_co_u32 v135, s0, v75, s2
	s_wait_alu 0xf1ff
	s_delay_alu instid0(VALU_DEP_2) | instskip(NEXT) | instid1(VALU_DEP_2)
	v_add_co_ci_u32_e64 v136, s0, s3, v76, s0
	v_add_co_u32 v137, s0, v135, s2
	s_wait_alu 0xf1ff
	s_delay_alu instid0(VALU_DEP_2)
	v_add_co_ci_u32_e64 v138, s0, s3, v136, s0
	s_wait_loadcnt_dscnt 0x607
	v_mul_f64_e32 v[99:100], v[164:165], v[30:31]
	v_mul_f64_e32 v[101:102], v[164:165], v[28:29]
	scratch_load_b128 v[164:167], off, off offset:124 th:TH_LOAD_LU ; 16-byte Folded Reload
	s_wait_loadcnt_dscnt 0x605
	v_mul_f64_e32 v[107:108], v[172:173], v[38:39]
	v_mul_f64_e32 v[109:110], v[172:173], v[36:37]
	scratch_load_b128 v[172:175], off, off offset:172 th:TH_LOAD_LU ; 16-byte Folded Reload
	s_wait_loadcnt 0x4
	v_mul_f64_e32 v[83:84], v[152:153], v[10:11]
	v_mul_f64_e32 v[85:86], v[152:153], v[8:9]
	scratch_load_b128 v[152:155], off, off offset:60 th:TH_LOAD_LU ; 16-byte Folded Reload
	v_mul_f64_e32 v[61:62], v[158:159], v[2:3]
	v_mul_f64_e32 v[63:64], v[158:159], v[0:1]
	scratch_load_b128 v[158:161], off, off offset:92 th:TH_LOAD_LU ; 16-byte Folded Reload
	s_wait_loadcnt 0x5
	v_mul_f64_e32 v[87:88], v[148:149], v[14:15]
	v_mul_f64_e32 v[89:90], v[148:149], v[12:13]
	s_wait_loadcnt 0x4
	v_mul_f64_e32 v[95:96], v[144:145], v[22:23]
	v_mul_f64_e32 v[97:98], v[144:145], v[20:21]
	v_fma_f64 v[28:29], v[162:163], v[28:29], v[99:100]
	v_fma_f64 v[30:31], v[162:163], v[30:31], -v[101:102]
	v_fma_f64 v[36:37], v[170:171], v[36:37], v[107:108]
	v_fma_f64 v[38:39], v[170:171], v[38:39], -v[109:110]
	;; [unrolled: 2-line block ×3, first 2 shown]
	s_delay_alu instid0(VALU_DEP_2)
	v_mul_f64_e32 v[2:3], s[6:7], v[0:1]
	s_wait_loadcnt 0x3
	v_mul_f64_e32 v[111:112], v[166:167], v[34:35]
	v_mul_f64_e32 v[113:114], v[166:167], v[32:33]
	scratch_load_b128 v[166:169], off, off offset:140 th:TH_LOAD_LU ; 16-byte Folded Reload
	v_mul_f64_e32 v[79:80], v[178:179], v[6:7]
	v_mul_f64_e32 v[81:82], v[178:179], v[4:5]
	scratch_load_b128 v[178:181], off, off offset:204 th:TH_LOAD_LU ; 16-byte Folded Reload
	s_wait_loadcnt 0x3
	v_mul_f64_e32 v[91:92], v[154:155], v[18:19]
	v_mul_f64_e32 v[93:94], v[154:155], v[16:17]
	s_wait_dscnt 0x4
	v_mul_f64_e32 v[119:120], v[174:175], v[42:43]
	s_wait_loadcnt 0x2
	v_mul_f64_e32 v[103:104], v[160:161], v[26:27]
	v_mul_f64_e32 v[105:106], v[160:161], v[24:25]
	;; [unrolled: 1-line block ×3, first 2 shown]
	v_fma_f64 v[101:102], v[164:165], v[32:33], v[111:112]
	v_fma_f64 v[63:64], v[176:177], v[4:5], v[79:80]
	v_fma_f64 v[79:80], v[176:177], v[6:7], -v[81:82]
	v_fma_f64 v[81:82], v[150:151], v[8:9], v[83:84]
	v_fma_f64 v[83:84], v[150:151], v[10:11], -v[85:86]
	;; [unrolled: 2-line block ×6, first 2 shown]
	v_fma_f64 v[103:104], v[164:165], v[34:35], -v[113:114]
	v_fma_f64 v[105:106], v[172:173], v[40:41], v[119:120]
	v_fma_f64 v[107:108], v[172:173], v[42:43], -v[121:122]
	v_mul_f64_e32 v[4:5], s[6:7], v[61:62]
	v_add_co_u32 v119, s0, v137, s8
	v_mul_f64_e32 v[26:27], s[6:7], v[28:29]
	v_mul_f64_e32 v[28:29], s[6:7], v[30:31]
	s_wait_alu 0xf1ff
	v_add_co_ci_u32_e64 v120, s0, s9, v138, s0
	v_mul_f64_e32 v[34:35], s[6:7], v[36:37]
	v_mul_f64_e32 v[36:37], s[6:7], v[38:39]
	v_mad_co_u64_u32 v[121:122], null, s5, v141, v[70:71]
	v_add_co_u32 v122, s0, v119, s2
	s_delay_alu instid0(VALU_DEP_2) | instskip(SKIP_1) | instid1(VALU_DEP_2)
	v_mov_b32_e32 v70, v121
	v_mul_f64_e32 v[38:39], s[6:7], v[101:102]
	v_lshlrev_b64_e32 v[0:1], 4, v[69:70]
	v_mul_f64_e32 v[6:7], s[6:7], v[63:64]
	v_mul_f64_e32 v[8:9], s[6:7], v[79:80]
	;; [unrolled: 1-line block ×13, first 2 shown]
	s_wait_loadcnt_dscnt 0x102
	v_mul_f64_e32 v[115:116], v[168:169], v[50:51]
	v_mul_f64_e32 v[117:118], v[168:169], v[48:49]
	s_wait_loadcnt 0x0
	v_mul_f64_e32 v[123:124], v[180:181], v[46:47]
	v_mul_f64_e32 v[125:126], v[180:181], v[44:45]
	scratch_load_b128 v[180:183], off, off offset:232 th:TH_LOAD_LU ; 16-byte Folded Reload
	v_fma_f64 v[48:49], v[166:167], v[48:49], v[115:116]
	v_fma_f64 v[50:51], v[166:167], v[50:51], -v[117:118]
	v_fma_f64 v[109:110], v[178:179], v[44:45], v[123:124]
	v_fma_f64 v[111:112], v[178:179], v[46:47], -v[125:126]
	v_mul_f64_e32 v[46:47], s[6:7], v[105:106]
	s_wait_alu 0xf1ff
	v_add_co_ci_u32_e64 v123, s0, s3, v120, s0
	v_mul_f64_e32 v[42:43], s[6:7], v[48:49]
	v_mul_f64_e32 v[44:45], s[6:7], v[50:51]
	v_mul_f64_e32 v[48:49], s[6:7], v[107:108]
	v_mul_f64_e32 v[50:51], s[6:7], v[109:110]
	s_wait_loadcnt_dscnt 0x1
	v_mul_f64_e32 v[127:128], v[182:183], v[54:55]
	v_mul_f64_e32 v[129:130], v[182:183], v[52:53]
	scratch_load_b128 v[182:185], off, off offset:248 th:TH_LOAD_LU ; 16-byte Folded Reload
	v_fma_f64 v[113:114], v[180:181], v[52:53], v[127:128]
	v_fma_f64 v[54:55], v[180:181], v[54:55], -v[129:130]
	v_mul_f64_e32 v[52:53], s[6:7], v[111:112]
	s_wait_loadcnt_dscnt 0x0
	v_mul_f64_e32 v[131:132], v[184:185], v[59:60]
	v_mul_f64_e32 v[133:134], v[184:185], v[57:58]
	s_delay_alu instid0(VALU_DEP_2) | instskip(NEXT) | instid1(VALU_DEP_2)
	v_fma_f64 v[115:116], v[182:183], v[57:58], v[131:132]
	v_fma_f64 v[117:118], v[182:183], v[59:60], -v[133:134]
	v_mul_f64_e32 v[57:58], s[6:7], v[113:114]
	v_mul_f64_e32 v[59:60], s[6:7], v[54:55]
	v_add_co_u32 v54, s0, v122, s2
	s_wait_alu 0xf1ff
	v_add_co_ci_u32_e64 v55, s0, s3, v123, s0
	s_delay_alu instid0(VALU_DEP_2) | instskip(SKIP_1) | instid1(VALU_DEP_2)
	v_add_co_u32 v79, s0, v54, s8
	s_wait_alu 0xf1ff
	v_add_co_ci_u32_e64 v80, s0, s9, v55, s0
	s_delay_alu instid0(VALU_DEP_2) | instskip(SKIP_1) | instid1(VALU_DEP_2)
	v_add_co_u32 v69, s0, v79, s2
	s_wait_alu 0xf1ff
	v_add_co_ci_u32_e64 v70, s0, s3, v80, s0
	v_add_co_u32 v81, s0, v139, v0
	s_wait_alu 0xf1ff
	v_add_co_ci_u32_e64 v82, s0, v140, v1, s0
	;; [unrolled: 3-line block ×3, first 2 shown]
	v_mul_f64_e32 v[61:62], s[6:7], v[115:116]
	v_mul_f64_e32 v[63:64], s[6:7], v[117:118]
	s_clause 0x5
	global_store_b128 v[77:78], v[2:5], off
	global_store_b128 v[65:66], v[6:9], off
	;; [unrolled: 1-line block ×15, first 2 shown]
	s_and_b32 exec_lo, exec_lo, vcc_lo
	s_cbranch_execz .LBB0_31
; %bb.30:
	scratch_load_b64 v[16:17], off, off th:TH_LOAD_LU ; 8-byte Folded Reload
	s_wait_loadcnt 0x0
	global_load_b128 v[2:5], v[16:17], off offset:8640
	ds_load_b128 v[6:9], v56 offset:8640
	ds_load_b128 v[10:13], v56 offset:17856
	s_wait_loadcnt_dscnt 0x1
	v_mul_f64_e32 v[14:15], v[8:9], v[4:5]
	v_mul_f64_e32 v[4:5], v[6:7], v[4:5]
	s_delay_alu instid0(VALU_DEP_2) | instskip(NEXT) | instid1(VALU_DEP_2)
	v_fma_f64 v[6:7], v[6:7], v[2:3], v[14:15]
	v_fma_f64 v[4:5], v[2:3], v[8:9], -v[4:5]
	s_delay_alu instid0(VALU_DEP_2) | instskip(NEXT) | instid1(VALU_DEP_2)
	v_mul_f64_e32 v[2:3], s[6:7], v[6:7]
	v_mul_f64_e32 v[4:5], s[6:7], v[4:5]
	v_add_co_u32 v6, vcc_lo, v0, s8
	s_wait_alu 0xfffd
	v_add_co_ci_u32_e32 v7, vcc_lo, s9, v1, vcc_lo
	s_delay_alu instid0(VALU_DEP_2) | instskip(SKIP_1) | instid1(VALU_DEP_2)
	v_add_co_u32 v8, vcc_lo, v6, s2
	s_wait_alu 0xfffd
	v_add_co_ci_u32_e32 v9, vcc_lo, s3, v7, vcc_lo
	global_store_b128 v[6:7], v[2:5], off
	global_load_b128 v[0:3], v[16:17], off offset:17856
	s_wait_loadcnt_dscnt 0x0
	v_mul_f64_e32 v[4:5], v[12:13], v[2:3]
	v_mul_f64_e32 v[2:3], v[10:11], v[2:3]
	s_delay_alu instid0(VALU_DEP_2) | instskip(NEXT) | instid1(VALU_DEP_2)
	v_fma_f64 v[4:5], v[10:11], v[0:1], v[4:5]
	v_fma_f64 v[2:3], v[0:1], v[12:13], -v[2:3]
	s_delay_alu instid0(VALU_DEP_2) | instskip(NEXT) | instid1(VALU_DEP_2)
	v_mul_f64_e32 v[0:1], s[6:7], v[4:5]
	v_mul_f64_e32 v[2:3], s[6:7], v[2:3]
	ds_load_b128 v[4:7], v56 offset:27072
	global_store_b128 v[8:9], v[0:3], off
	global_load_b128 v[0:3], v[16:17], off offset:27072
	s_wait_loadcnt_dscnt 0x0
	v_mul_f64_e32 v[10:11], v[6:7], v[2:3]
	v_mul_f64_e32 v[2:3], v[4:5], v[2:3]
	s_delay_alu instid0(VALU_DEP_2) | instskip(NEXT) | instid1(VALU_DEP_2)
	v_fma_f64 v[4:5], v[4:5], v[0:1], v[10:11]
	v_fma_f64 v[2:3], v[0:1], v[6:7], -v[2:3]
	s_delay_alu instid0(VALU_DEP_2) | instskip(NEXT) | instid1(VALU_DEP_2)
	v_mul_f64_e32 v[0:1], s[6:7], v[4:5]
	v_mul_f64_e32 v[2:3], s[6:7], v[2:3]
	v_add_co_u32 v4, vcc_lo, v8, s2
	s_wait_alu 0xfffd
	v_add_co_ci_u32_e32 v5, vcc_lo, s3, v9, vcc_lo
	global_store_b128 v[4:5], v[0:3], off
.LBB0_31:
	s_nop 0
	s_sendmsg sendmsg(MSG_DEALLOC_VGPRS)
	s_endpgm
	.section	.rodata,"a",@progbits
	.p2align	6, 0x0
	.amdhsa_kernel bluestein_single_fwd_len1728_dim1_dp_op_CI_CI
		.amdhsa_group_segment_fixed_size 27648
		.amdhsa_private_segment_fixed_size 456
		.amdhsa_kernarg_size 104
		.amdhsa_user_sgpr_count 2
		.amdhsa_user_sgpr_dispatch_ptr 0
		.amdhsa_user_sgpr_queue_ptr 0
		.amdhsa_user_sgpr_kernarg_segment_ptr 1
		.amdhsa_user_sgpr_dispatch_id 0
		.amdhsa_user_sgpr_private_segment_size 0
		.amdhsa_wavefront_size32 1
		.amdhsa_uses_dynamic_stack 0
		.amdhsa_enable_private_segment 1
		.amdhsa_system_sgpr_workgroup_id_x 1
		.amdhsa_system_sgpr_workgroup_id_y 0
		.amdhsa_system_sgpr_workgroup_id_z 0
		.amdhsa_system_sgpr_workgroup_info 0
		.amdhsa_system_vgpr_workitem_id 0
		.amdhsa_next_free_vgpr 256
		.amdhsa_next_free_sgpr 22
		.amdhsa_reserve_vcc 1
		.amdhsa_float_round_mode_32 0
		.amdhsa_float_round_mode_16_64 0
		.amdhsa_float_denorm_mode_32 3
		.amdhsa_float_denorm_mode_16_64 3
		.amdhsa_fp16_overflow 0
		.amdhsa_workgroup_processor_mode 1
		.amdhsa_memory_ordered 1
		.amdhsa_forward_progress 0
		.amdhsa_round_robin_scheduling 0
		.amdhsa_exception_fp_ieee_invalid_op 0
		.amdhsa_exception_fp_denorm_src 0
		.amdhsa_exception_fp_ieee_div_zero 0
		.amdhsa_exception_fp_ieee_overflow 0
		.amdhsa_exception_fp_ieee_underflow 0
		.amdhsa_exception_fp_ieee_inexact 0
		.amdhsa_exception_int_div_zero 0
	.end_amdhsa_kernel
	.text
.Lfunc_end0:
	.size	bluestein_single_fwd_len1728_dim1_dp_op_CI_CI, .Lfunc_end0-bluestein_single_fwd_len1728_dim1_dp_op_CI_CI
                                        ; -- End function
	.section	.AMDGPU.csdata,"",@progbits
; Kernel info:
; codeLenInByte = 20592
; NumSgprs: 24
; NumVgprs: 256
; ScratchSize: 456
; MemoryBound: 0
; FloatMode: 240
; IeeeMode: 1
; LDSByteSize: 27648 bytes/workgroup (compile time only)
; SGPRBlocks: 2
; VGPRBlocks: 31
; NumSGPRsForWavesPerEU: 24
; NumVGPRsForWavesPerEU: 256
; Occupancy: 4
; WaveLimiterHint : 1
; COMPUTE_PGM_RSRC2:SCRATCH_EN: 1
; COMPUTE_PGM_RSRC2:USER_SGPR: 2
; COMPUTE_PGM_RSRC2:TRAP_HANDLER: 0
; COMPUTE_PGM_RSRC2:TGID_X_EN: 1
; COMPUTE_PGM_RSRC2:TGID_Y_EN: 0
; COMPUTE_PGM_RSRC2:TGID_Z_EN: 0
; COMPUTE_PGM_RSRC2:TIDIG_COMP_CNT: 0
	.text
	.p2alignl 7, 3214868480
	.fill 96, 4, 3214868480
	.type	__hip_cuid_778754b4f6c8dc42,@object ; @__hip_cuid_778754b4f6c8dc42
	.section	.bss,"aw",@nobits
	.globl	__hip_cuid_778754b4f6c8dc42
__hip_cuid_778754b4f6c8dc42:
	.byte	0                               ; 0x0
	.size	__hip_cuid_778754b4f6c8dc42, 1

	.ident	"AMD clang version 19.0.0git (https://github.com/RadeonOpenCompute/llvm-project roc-6.4.0 25133 c7fe45cf4b819c5991fe208aaa96edf142730f1d)"
	.section	".note.GNU-stack","",@progbits
	.addrsig
	.addrsig_sym __hip_cuid_778754b4f6c8dc42
	.amdgpu_metadata
---
amdhsa.kernels:
  - .args:
      - .actual_access:  read_only
        .address_space:  global
        .offset:         0
        .size:           8
        .value_kind:     global_buffer
      - .actual_access:  read_only
        .address_space:  global
        .offset:         8
        .size:           8
        .value_kind:     global_buffer
      - .actual_access:  read_only
        .address_space:  global
        .offset:         16
        .size:           8
        .value_kind:     global_buffer
      - .actual_access:  read_only
        .address_space:  global
        .offset:         24
        .size:           8
        .value_kind:     global_buffer
      - .actual_access:  read_only
        .address_space:  global
        .offset:         32
        .size:           8
        .value_kind:     global_buffer
      - .offset:         40
        .size:           8
        .value_kind:     by_value
      - .address_space:  global
        .offset:         48
        .size:           8
        .value_kind:     global_buffer
      - .address_space:  global
        .offset:         56
        .size:           8
        .value_kind:     global_buffer
      - .address_space:  global
        .offset:         64
        .size:           8
        .value_kind:     global_buffer
      - .address_space:  global
        .offset:         72
        .size:           8
        .value_kind:     global_buffer
      - .offset:         80
        .size:           4
        .value_kind:     by_value
      - .address_space:  global
        .offset:         88
        .size:           8
        .value_kind:     global_buffer
      - .address_space:  global
        .offset:         96
        .size:           8
        .value_kind:     global_buffer
    .group_segment_fixed_size: 27648
    .kernarg_segment_align: 8
    .kernarg_segment_size: 104
    .language:       OpenCL C
    .language_version:
      - 2
      - 0
    .max_flat_workgroup_size: 108
    .name:           bluestein_single_fwd_len1728_dim1_dp_op_CI_CI
    .private_segment_fixed_size: 456
    .sgpr_count:     24
    .sgpr_spill_count: 0
    .symbol:         bluestein_single_fwd_len1728_dim1_dp_op_CI_CI.kd
    .uniform_work_group_size: 1
    .uses_dynamic_stack: false
    .vgpr_count:     256
    .vgpr_spill_count: 113
    .wavefront_size: 32
    .workgroup_processor_mode: 1
amdhsa.target:   amdgcn-amd-amdhsa--gfx1201
amdhsa.version:
  - 1
  - 2
...

	.end_amdgpu_metadata
